;; amdgpu-corpus repo=ROCm/rocFFT kind=compiled arch=gfx1100 opt=O3
	.text
	.amdgcn_target "amdgcn-amd-amdhsa--gfx1100"
	.amdhsa_code_object_version 6
	.protected	fft_rtc_fwd_len867_factors_17_17_3_wgs_51_tpt_51_halfLds_sp_ip_CI_unitstride_sbrr_dirReg ; -- Begin function fft_rtc_fwd_len867_factors_17_17_3_wgs_51_tpt_51_halfLds_sp_ip_CI_unitstride_sbrr_dirReg
	.globl	fft_rtc_fwd_len867_factors_17_17_3_wgs_51_tpt_51_halfLds_sp_ip_CI_unitstride_sbrr_dirReg
	.p2align	8
	.type	fft_rtc_fwd_len867_factors_17_17_3_wgs_51_tpt_51_halfLds_sp_ip_CI_unitstride_sbrr_dirReg,@function
fft_rtc_fwd_len867_factors_17_17_3_wgs_51_tpt_51_halfLds_sp_ip_CI_unitstride_sbrr_dirReg: ; @fft_rtc_fwd_len867_factors_17_17_3_wgs_51_tpt_51_halfLds_sp_ip_CI_unitstride_sbrr_dirReg
; %bb.0:
	s_clause 0x2
	s_load_b128 s[4:7], s[0:1], 0x0
	s_load_b64 s[8:9], s[0:1], 0x50
	s_load_b64 s[10:11], s[0:1], 0x18
	v_mul_u32_u24_e32 v1, 0x506, v0
	v_mov_b32_e32 v3, 0
	v_mov_b32_e32 v4, 0
	s_delay_alu instid0(VALU_DEP_3) | instskip(SKIP_1) | instid1(VALU_DEP_1)
	v_lshrrev_b32_e32 v2, 16, v1
	v_mov_b32_e32 v1, 0
	v_dual_mov_b32 v6, v1 :: v_dual_add_nc_u32 v5, s15, v2
	s_waitcnt lgkmcnt(0)
	v_cmp_lt_u64_e64 s2, s[6:7], 2
	s_delay_alu instid0(VALU_DEP_1)
	s_and_b32 vcc_lo, exec_lo, s2
	s_cbranch_vccnz .LBB0_8
; %bb.1:
	s_load_b64 s[2:3], s[0:1], 0x10
	v_mov_b32_e32 v3, 0
	s_add_u32 s12, s10, 8
	v_mov_b32_e32 v4, 0
	s_addc_u32 s13, s11, 0
	s_mov_b64 s[16:17], 1
	s_waitcnt lgkmcnt(0)
	s_add_u32 s14, s2, 8
	s_addc_u32 s15, s3, 0
.LBB0_2:                                ; =>This Inner Loop Header: Depth=1
	s_load_b64 s[18:19], s[14:15], 0x0
                                        ; implicit-def: $vgpr7_vgpr8
	s_mov_b32 s2, exec_lo
	s_waitcnt lgkmcnt(0)
	v_or_b32_e32 v2, s19, v6
	s_delay_alu instid0(VALU_DEP_1)
	v_cmpx_ne_u64_e32 0, v[1:2]
	s_xor_b32 s3, exec_lo, s2
	s_cbranch_execz .LBB0_4
; %bb.3:                                ;   in Loop: Header=BB0_2 Depth=1
	v_cvt_f32_u32_e32 v2, s18
	v_cvt_f32_u32_e32 v7, s19
	s_sub_u32 s2, 0, s18
	s_subb_u32 s20, 0, s19
	s_delay_alu instid0(VALU_DEP_1) | instskip(NEXT) | instid1(VALU_DEP_1)
	v_fmac_f32_e32 v2, 0x4f800000, v7
	v_rcp_f32_e32 v2, v2
	s_waitcnt_depctr 0xfff
	v_mul_f32_e32 v2, 0x5f7ffffc, v2
	s_delay_alu instid0(VALU_DEP_1) | instskip(NEXT) | instid1(VALU_DEP_1)
	v_mul_f32_e32 v7, 0x2f800000, v2
	v_trunc_f32_e32 v7, v7
	s_delay_alu instid0(VALU_DEP_1) | instskip(SKIP_1) | instid1(VALU_DEP_2)
	v_fmac_f32_e32 v2, 0xcf800000, v7
	v_cvt_u32_f32_e32 v7, v7
	v_cvt_u32_f32_e32 v2, v2
	s_delay_alu instid0(VALU_DEP_2) | instskip(NEXT) | instid1(VALU_DEP_2)
	v_mul_lo_u32 v8, s2, v7
	v_mul_hi_u32 v9, s2, v2
	v_mul_lo_u32 v10, s20, v2
	s_delay_alu instid0(VALU_DEP_2) | instskip(SKIP_1) | instid1(VALU_DEP_2)
	v_add_nc_u32_e32 v8, v9, v8
	v_mul_lo_u32 v9, s2, v2
	v_add_nc_u32_e32 v8, v8, v10
	s_delay_alu instid0(VALU_DEP_2) | instskip(NEXT) | instid1(VALU_DEP_2)
	v_mul_hi_u32 v10, v2, v9
	v_mul_lo_u32 v11, v2, v8
	v_mul_hi_u32 v12, v2, v8
	v_mul_hi_u32 v13, v7, v9
	v_mul_lo_u32 v9, v7, v9
	v_mul_hi_u32 v14, v7, v8
	v_mul_lo_u32 v8, v7, v8
	v_add_co_u32 v10, vcc_lo, v10, v11
	v_add_co_ci_u32_e32 v11, vcc_lo, 0, v12, vcc_lo
	s_delay_alu instid0(VALU_DEP_2) | instskip(NEXT) | instid1(VALU_DEP_2)
	v_add_co_u32 v9, vcc_lo, v10, v9
	v_add_co_ci_u32_e32 v9, vcc_lo, v11, v13, vcc_lo
	v_add_co_ci_u32_e32 v10, vcc_lo, 0, v14, vcc_lo
	s_delay_alu instid0(VALU_DEP_2) | instskip(NEXT) | instid1(VALU_DEP_2)
	v_add_co_u32 v8, vcc_lo, v9, v8
	v_add_co_ci_u32_e32 v9, vcc_lo, 0, v10, vcc_lo
	s_delay_alu instid0(VALU_DEP_2) | instskip(NEXT) | instid1(VALU_DEP_2)
	v_add_co_u32 v2, vcc_lo, v2, v8
	v_add_co_ci_u32_e32 v7, vcc_lo, v7, v9, vcc_lo
	s_delay_alu instid0(VALU_DEP_2) | instskip(SKIP_1) | instid1(VALU_DEP_3)
	v_mul_hi_u32 v8, s2, v2
	v_mul_lo_u32 v10, s20, v2
	v_mul_lo_u32 v9, s2, v7
	s_delay_alu instid0(VALU_DEP_1) | instskip(SKIP_1) | instid1(VALU_DEP_2)
	v_add_nc_u32_e32 v8, v8, v9
	v_mul_lo_u32 v9, s2, v2
	v_add_nc_u32_e32 v8, v8, v10
	s_delay_alu instid0(VALU_DEP_2) | instskip(NEXT) | instid1(VALU_DEP_2)
	v_mul_hi_u32 v10, v2, v9
	v_mul_lo_u32 v11, v2, v8
	v_mul_hi_u32 v12, v2, v8
	v_mul_hi_u32 v13, v7, v9
	v_mul_lo_u32 v9, v7, v9
	v_mul_hi_u32 v14, v7, v8
	v_mul_lo_u32 v8, v7, v8
	v_add_co_u32 v10, vcc_lo, v10, v11
	v_add_co_ci_u32_e32 v11, vcc_lo, 0, v12, vcc_lo
	s_delay_alu instid0(VALU_DEP_2) | instskip(NEXT) | instid1(VALU_DEP_2)
	v_add_co_u32 v9, vcc_lo, v10, v9
	v_add_co_ci_u32_e32 v9, vcc_lo, v11, v13, vcc_lo
	v_add_co_ci_u32_e32 v10, vcc_lo, 0, v14, vcc_lo
	s_delay_alu instid0(VALU_DEP_2) | instskip(NEXT) | instid1(VALU_DEP_2)
	v_add_co_u32 v8, vcc_lo, v9, v8
	v_add_co_ci_u32_e32 v9, vcc_lo, 0, v10, vcc_lo
	s_delay_alu instid0(VALU_DEP_2) | instskip(NEXT) | instid1(VALU_DEP_2)
	v_add_co_u32 v2, vcc_lo, v2, v8
	v_add_co_ci_u32_e32 v13, vcc_lo, v7, v9, vcc_lo
	s_delay_alu instid0(VALU_DEP_2) | instskip(SKIP_1) | instid1(VALU_DEP_3)
	v_mul_hi_u32 v14, v5, v2
	v_mad_u64_u32 v[9:10], null, v6, v2, 0
	v_mad_u64_u32 v[7:8], null, v5, v13, 0
	;; [unrolled: 1-line block ×3, first 2 shown]
	s_delay_alu instid0(VALU_DEP_2) | instskip(NEXT) | instid1(VALU_DEP_3)
	v_add_co_u32 v2, vcc_lo, v14, v7
	v_add_co_ci_u32_e32 v7, vcc_lo, 0, v8, vcc_lo
	s_delay_alu instid0(VALU_DEP_2) | instskip(NEXT) | instid1(VALU_DEP_2)
	v_add_co_u32 v2, vcc_lo, v2, v9
	v_add_co_ci_u32_e32 v2, vcc_lo, v7, v10, vcc_lo
	v_add_co_ci_u32_e32 v7, vcc_lo, 0, v12, vcc_lo
	s_delay_alu instid0(VALU_DEP_2) | instskip(NEXT) | instid1(VALU_DEP_2)
	v_add_co_u32 v2, vcc_lo, v2, v11
	v_add_co_ci_u32_e32 v9, vcc_lo, 0, v7, vcc_lo
	s_delay_alu instid0(VALU_DEP_2) | instskip(SKIP_1) | instid1(VALU_DEP_3)
	v_mul_lo_u32 v10, s19, v2
	v_mad_u64_u32 v[7:8], null, s18, v2, 0
	v_mul_lo_u32 v11, s18, v9
	s_delay_alu instid0(VALU_DEP_2) | instskip(NEXT) | instid1(VALU_DEP_2)
	v_sub_co_u32 v7, vcc_lo, v5, v7
	v_add3_u32 v8, v8, v11, v10
	s_delay_alu instid0(VALU_DEP_1) | instskip(NEXT) | instid1(VALU_DEP_1)
	v_sub_nc_u32_e32 v10, v6, v8
	v_subrev_co_ci_u32_e64 v10, s2, s19, v10, vcc_lo
	v_add_co_u32 v11, s2, v2, 2
	s_delay_alu instid0(VALU_DEP_1) | instskip(SKIP_3) | instid1(VALU_DEP_3)
	v_add_co_ci_u32_e64 v12, s2, 0, v9, s2
	v_sub_co_u32 v13, s2, v7, s18
	v_sub_co_ci_u32_e32 v8, vcc_lo, v6, v8, vcc_lo
	v_subrev_co_ci_u32_e64 v10, s2, 0, v10, s2
	v_cmp_le_u32_e32 vcc_lo, s18, v13
	s_delay_alu instid0(VALU_DEP_3) | instskip(SKIP_1) | instid1(VALU_DEP_4)
	v_cmp_eq_u32_e64 s2, s19, v8
	v_cndmask_b32_e64 v13, 0, -1, vcc_lo
	v_cmp_le_u32_e32 vcc_lo, s19, v10
	v_cndmask_b32_e64 v14, 0, -1, vcc_lo
	v_cmp_le_u32_e32 vcc_lo, s18, v7
	;; [unrolled: 2-line block ×3, first 2 shown]
	v_cndmask_b32_e64 v15, 0, -1, vcc_lo
	v_cmp_eq_u32_e32 vcc_lo, s19, v10
	s_delay_alu instid0(VALU_DEP_2) | instskip(SKIP_3) | instid1(VALU_DEP_3)
	v_cndmask_b32_e64 v7, v15, v7, s2
	v_cndmask_b32_e32 v10, v14, v13, vcc_lo
	v_add_co_u32 v13, vcc_lo, v2, 1
	v_add_co_ci_u32_e32 v14, vcc_lo, 0, v9, vcc_lo
	v_cmp_ne_u32_e32 vcc_lo, 0, v10
	s_delay_alu instid0(VALU_DEP_2) | instskip(NEXT) | instid1(VALU_DEP_4)
	v_cndmask_b32_e32 v8, v14, v12, vcc_lo
	v_cndmask_b32_e32 v10, v13, v11, vcc_lo
	v_cmp_ne_u32_e32 vcc_lo, 0, v7
	s_delay_alu instid0(VALU_DEP_2)
	v_dual_cndmask_b32 v7, v2, v10 :: v_dual_cndmask_b32 v8, v9, v8
.LBB0_4:                                ;   in Loop: Header=BB0_2 Depth=1
	s_and_not1_saveexec_b32 s2, s3
	s_cbranch_execz .LBB0_6
; %bb.5:                                ;   in Loop: Header=BB0_2 Depth=1
	v_cvt_f32_u32_e32 v2, s18
	s_sub_i32 s3, 0, s18
	s_delay_alu instid0(VALU_DEP_1) | instskip(SKIP_2) | instid1(VALU_DEP_1)
	v_rcp_iflag_f32_e32 v2, v2
	s_waitcnt_depctr 0xfff
	v_mul_f32_e32 v2, 0x4f7ffffe, v2
	v_cvt_u32_f32_e32 v2, v2
	s_delay_alu instid0(VALU_DEP_1) | instskip(NEXT) | instid1(VALU_DEP_1)
	v_mul_lo_u32 v7, s3, v2
	v_mul_hi_u32 v7, v2, v7
	s_delay_alu instid0(VALU_DEP_1) | instskip(NEXT) | instid1(VALU_DEP_1)
	v_add_nc_u32_e32 v2, v2, v7
	v_mul_hi_u32 v2, v5, v2
	s_delay_alu instid0(VALU_DEP_1) | instskip(SKIP_1) | instid1(VALU_DEP_2)
	v_mul_lo_u32 v7, v2, s18
	v_add_nc_u32_e32 v8, 1, v2
	v_sub_nc_u32_e32 v7, v5, v7
	s_delay_alu instid0(VALU_DEP_1) | instskip(SKIP_1) | instid1(VALU_DEP_2)
	v_subrev_nc_u32_e32 v9, s18, v7
	v_cmp_le_u32_e32 vcc_lo, s18, v7
	v_dual_cndmask_b32 v7, v7, v9 :: v_dual_cndmask_b32 v2, v2, v8
	s_delay_alu instid0(VALU_DEP_1) | instskip(NEXT) | instid1(VALU_DEP_2)
	v_cmp_le_u32_e32 vcc_lo, s18, v7
	v_add_nc_u32_e32 v8, 1, v2
	s_delay_alu instid0(VALU_DEP_1)
	v_dual_cndmask_b32 v7, v2, v8 :: v_dual_mov_b32 v8, v1
.LBB0_6:                                ;   in Loop: Header=BB0_2 Depth=1
	s_or_b32 exec_lo, exec_lo, s2
	s_load_b64 s[2:3], s[12:13], 0x0
	s_delay_alu instid0(VALU_DEP_1) | instskip(NEXT) | instid1(VALU_DEP_2)
	v_mul_lo_u32 v2, v8, s18
	v_mul_lo_u32 v11, v7, s19
	v_mad_u64_u32 v[9:10], null, v7, s18, 0
	s_add_u32 s16, s16, 1
	s_addc_u32 s17, s17, 0
	s_add_u32 s12, s12, 8
	s_addc_u32 s13, s13, 0
	;; [unrolled: 2-line block ×3, first 2 shown]
	s_delay_alu instid0(VALU_DEP_1) | instskip(SKIP_1) | instid1(VALU_DEP_2)
	v_add3_u32 v2, v10, v11, v2
	v_sub_co_u32 v9, vcc_lo, v5, v9
	v_sub_co_ci_u32_e32 v2, vcc_lo, v6, v2, vcc_lo
	s_waitcnt lgkmcnt(0)
	s_delay_alu instid0(VALU_DEP_2) | instskip(NEXT) | instid1(VALU_DEP_2)
	v_mul_lo_u32 v10, s3, v9
	v_mul_lo_u32 v2, s2, v2
	v_mad_u64_u32 v[5:6], null, s2, v9, v[3:4]
	v_cmp_ge_u64_e64 s2, s[16:17], s[6:7]
	s_delay_alu instid0(VALU_DEP_1) | instskip(NEXT) | instid1(VALU_DEP_2)
	s_and_b32 vcc_lo, exec_lo, s2
	v_add3_u32 v4, v10, v6, v2
	s_delay_alu instid0(VALU_DEP_3)
	v_mov_b32_e32 v3, v5
	s_cbranch_vccnz .LBB0_9
; %bb.7:                                ;   in Loop: Header=BB0_2 Depth=1
	v_dual_mov_b32 v5, v7 :: v_dual_mov_b32 v6, v8
	s_branch .LBB0_2
.LBB0_8:
	v_dual_mov_b32 v8, v6 :: v_dual_mov_b32 v7, v5
.LBB0_9:
	s_lshl_b64 s[2:3], s[6:7], 3
	v_mov_b32_e32 v28, 0
	s_add_u32 s2, s10, s2
	s_addc_u32 s3, s11, s3
	v_mov_b32_e32 v29, 0
	s_load_b64 s[2:3], s[2:3], 0x0
	s_load_b64 s[0:1], s[0:1], 0x20
                                        ; implicit-def: $vgpr37
                                        ; implicit-def: $vgpr31
                                        ; implicit-def: $vgpr25
                                        ; implicit-def: $vgpr21
                                        ; implicit-def: $vgpr17
                                        ; implicit-def: $vgpr13
                                        ; implicit-def: $vgpr9
                                        ; implicit-def: $vgpr35
                                        ; implicit-def: $vgpr33
                                        ; implicit-def: $vgpr27
                                        ; implicit-def: $vgpr23
                                        ; implicit-def: $vgpr19
                                        ; implicit-def: $vgpr15
                                        ; implicit-def: $vgpr11
	s_waitcnt lgkmcnt(0)
	v_mul_lo_u32 v5, s2, v8
	v_mul_lo_u32 v6, s3, v7
	v_mad_u64_u32 v[1:2], null, s2, v7, v[3:4]
	v_mul_hi_u32 v3, 0x5050506, v0
	v_cmp_gt_u64_e32 vcc_lo, s[0:1], v[7:8]
                                        ; implicit-def: $vgpr7
	s_delay_alu instid0(VALU_DEP_3) | instskip(NEXT) | instid1(VALU_DEP_3)
	v_add3_u32 v2, v6, v2, v5
                                        ; implicit-def: $vgpr5
	v_mul_u32_u24_e32 v4, 51, v3
	s_delay_alu instid0(VALU_DEP_2) | instskip(NEXT) | instid1(VALU_DEP_2)
	v_lshlrev_b64 v[2:3], 3, v[1:2]
	v_sub_nc_u32_e32 v0, v0, v4
	s_and_saveexec_b32 s1, vcc_lo
; %bb.10:
	v_mov_b32_e32 v1, 0
	s_delay_alu instid0(VALU_DEP_1) | instskip(NEXT) | instid1(VALU_DEP_4)
	v_lshlrev_b64 v[4:5], 3, v[0:1]
	v_add_co_u32 v1, s0, s8, v2
	s_delay_alu instid0(VALU_DEP_1) | instskip(NEXT) | instid1(VALU_DEP_2)
	v_add_co_ci_u32_e64 v6, s0, s9, v3, s0
	v_add_co_u32 v10, s0, v1, v4
	s_delay_alu instid0(VALU_DEP_1)
	v_add_co_ci_u32_e64 v11, s0, v6, v5, s0
	s_clause 0x3
	global_load_b64 v[28:29], v[10:11], off
	global_load_b64 v[36:37], v[10:11], off offset:408
	global_load_b64 v[30:31], v[10:11], off offset:816
	;; [unrolled: 1-line block ×3, first 2 shown]
	v_add_co_u32 v34, s0, 0x1000, v10
	s_delay_alu instid0(VALU_DEP_1)
	v_add_co_ci_u32_e64 v35, s0, 0, v11, s0
	s_clause 0xc
	global_load_b64 v[20:21], v[10:11], off offset:1632
	global_load_b64 v[16:17], v[10:11], off offset:2040
	;; [unrolled: 1-line block ×13, first 2 shown]
; %bb.11:
	s_or_b32 exec_lo, exec_lo, s1
	s_waitcnt vmcnt(15)
	v_dual_add_f32 v1, v36, v28 :: v_dual_add_f32 v38, v37, v29
	s_waitcnt vmcnt(0)
	v_dual_add_f32 v39, v36, v34 :: v_dual_add_f32 v40, v37, v35
	v_dual_sub_f32 v36, v36, v34 :: v_dual_sub_f32 v37, v37, v35
	s_delay_alu instid0(VALU_DEP_3) | instskip(NEXT) | instid1(VALU_DEP_3)
	v_dual_add_f32 v1, v30, v1 :: v_dual_add_f32 v38, v31, v38
	v_mul_f32_e32 v41, 0x3f6eb680, v39
	v_cmp_gt_u32_e64 s0, 34, v0
	s_delay_alu instid0(VALU_DEP_3) | instskip(NEXT) | instid1(VALU_DEP_4)
	v_dual_mul_f32 v42, 0xbeb8f4ab, v36 :: v_dual_add_f32 v1, v24, v1
	v_dual_add_f32 v38, v25, v38 :: v_dual_mul_f32 v43, 0x3f3d2fb0, v39
	v_mul_f32_e32 v44, 0xbf2c7751, v36
	v_sub_f32_e32 v70, v31, v33
	s_delay_alu instid0(VALU_DEP_3) | instskip(SKIP_2) | instid1(VALU_DEP_3)
	v_dual_add_f32 v1, v20, v1 :: v_dual_add_f32 v38, v21, v38
	v_mul_f32_e32 v45, 0x3ee437d1, v39
	v_dual_mul_f32 v46, 0xbf65296c, v36 :: v_dual_add_f32 v31, v31, v33
	v_dual_add_f32 v1, v16, v1 :: v_dual_add_f32 v38, v17, v38
	v_mul_f32_e32 v47, 0x3dbcf732, v39
	v_mul_f32_e32 v48, 0xbf7ee86f, v36
	s_delay_alu instid0(VALU_DEP_3) | instskip(NEXT) | instid1(VALU_DEP_4)
	v_dual_add_f32 v68, v30, v32 :: v_dual_add_f32 v1, v12, v1
	v_dual_add_f32 v38, v13, v38 :: v_dual_mul_f32 v49, 0xbe8c1d8e, v39
	v_fmamk_f32 v50, v37, 0x3eb8f4ab, v41
	s_delay_alu instid0(VALU_DEP_3) | instskip(NEXT) | instid1(VALU_DEP_3)
	v_dual_sub_f32 v30, v30, v32 :: v_dual_add_f32 v1, v8, v1
	v_dual_add_f32 v38, v9, v38 :: v_dual_fmamk_f32 v51, v40, 0x3f6eb680, v42
	v_fmamk_f32 v52, v37, 0x3f2c7751, v43
	s_delay_alu instid0(VALU_DEP_3) | instskip(NEXT) | instid1(VALU_DEP_3)
	v_dual_fmamk_f32 v58, v37, 0x3f763a35, v49 :: v_dual_add_f32 v1, v4, v1
	v_dual_add_f32 v38, v5, v38 :: v_dual_fmac_f32 v41, 0xbeb8f4ab, v37
	v_fmamk_f32 v54, v37, 0x3f65296c, v45
	s_delay_alu instid0(VALU_DEP_3) | instskip(NEXT) | instid1(VALU_DEP_3)
	v_dual_add_f32 v52, v52, v28 :: v_dual_add_f32 v1, v6, v1
	v_dual_add_f32 v38, v7, v38 :: v_dual_fmamk_f32 v53, v40, 0x3f3d2fb0, v44
	v_fmamk_f32 v56, v37, 0x3f7ee86f, v47
	v_fmac_f32_e32 v47, 0xbf7ee86f, v37
	s_delay_alu instid0(VALU_DEP_3) | instskip(SKIP_3) | instid1(VALU_DEP_4)
	v_dual_add_f32 v1, v10, v1 :: v_dual_add_f32 v38, v11, v38
	v_fmac_f32_e32 v43, 0xbf2c7751, v37
	v_fma_f32 v42, 0x3f6eb680, v40, -v42
	v_dual_fmamk_f32 v55, v40, 0x3ee437d1, v46 :: v_dual_add_f32 v50, v50, v28
	v_dual_add_f32 v1, v14, v1 :: v_dual_add_f32 v38, v15, v38
	v_fmac_f32_e32 v45, 0xbf65296c, v37
	s_delay_alu instid0(VALU_DEP_4) | instskip(SKIP_1) | instid1(VALU_DEP_4)
	v_dual_fmamk_f32 v57, v40, 0x3dbcf732, v48 :: v_dual_add_f32 v42, v42, v29
	v_fma_f32 v48, 0x3dbcf732, v40, -v48
	v_dual_add_f32 v38, v19, v38 :: v_dual_add_f32 v1, v18, v1
	v_dual_add_f32 v55, v55, v29 :: v_dual_add_f32 v58, v58, v28
	v_fma_f32 v44, 0x3f3d2fb0, v40, -v44
	s_delay_alu instid0(VALU_DEP_3) | instskip(SKIP_2) | instid1(VALU_DEP_3)
	v_dual_add_f32 v38, v23, v38 :: v_dual_add_f32 v1, v22, v1
	v_fma_f32 v46, 0x3ee437d1, v40, -v46
	v_dual_add_f32 v51, v51, v29 :: v_dual_add_f32 v54, v54, v28
	v_dual_add_f32 v38, v27, v38 :: v_dual_add_f32 v1, v26, v1
	v_add_f32_e32 v43, v43, v28
	v_dual_add_f32 v41, v41, v28 :: v_dual_add_f32 v44, v44, v29
	s_delay_alu instid0(VALU_DEP_3) | instskip(SKIP_2) | instid1(VALU_DEP_3)
	v_dual_add_f32 v38, v33, v38 :: v_dual_add_f32 v1, v32, v1
	v_dual_add_f32 v53, v53, v29 :: v_dual_add_f32 v56, v56, v28
	;; [unrolled: 1-line block ×5, first 2 shown]
	v_mul_f32_e32 v48, 0xbf1a4643, v39
	v_mul_f32_e32 v61, 0xbf4c4adb, v36
	;; [unrolled: 1-line block ×3, first 2 shown]
	s_delay_alu instid0(VALU_DEP_3)
	v_fmamk_f32 v60, v37, 0x3f4c4adb, v48
	v_fmac_f32_e32 v48, 0xbf4c4adb, v37
	v_fmac_f32_e32 v49, 0xbf763a35, v37
	v_fmamk_f32 v62, v40, 0xbf1a4643, v61
	v_mul_f32_e32 v35, 0xbf763a35, v36
	v_fma_f32 v61, 0xbf1a4643, v40, -v61
	v_mul_f32_e32 v64, 0xbf06c442, v36
	v_add_f32_e32 v48, v48, v28
	v_dual_add_f32 v49, v49, v28 :: v_dual_add_f32 v62, v62, v29
	s_delay_alu instid0(VALU_DEP_4) | instskip(NEXT) | instid1(VALU_DEP_4)
	v_add_f32_e32 v61, v61, v29
	v_dual_mul_f32 v63, 0xbf59a7d5, v39 :: v_dual_fmamk_f32 v66, v40, 0xbf59a7d5, v64
	v_fmamk_f32 v59, v40, 0xbe8c1d8e, v35
	v_fma_f32 v35, 0xbe8c1d8e, v40, -v35
	v_mul_f32_e32 v39, 0xbf7ba420, v39
	v_fma_f32 v64, 0xbf59a7d5, v40, -v64
	v_fmamk_f32 v65, v37, 0x3f06c442, v63
	v_fmac_f32_e32 v63, 0xbf06c442, v37
	v_add_f32_e32 v35, v35, v29
	v_add_f32_e32 v66, v66, v29
	v_dual_add_f32 v59, v59, v29 :: v_dual_mul_f32 v36, 0xbe3c28d5, v36
	v_dual_fmamk_f32 v67, v37, 0x3e3c28d5, v39 :: v_dual_add_f32 v64, v64, v29
	v_add_f32_e32 v65, v65, v28
	v_fmamk_f32 v33, v70, 0x3f2c7751, v71
	s_delay_alu instid0(VALU_DEP_4)
	v_fmamk_f32 v69, v40, 0xbf7ba420, v36
	v_fma_f32 v32, 0xbf7ba420, v40, -v36
	v_dual_mul_f32 v36, 0xbf2c7751, v30 :: v_dual_add_f32 v57, v57, v29
	v_add_f32_e32 v60, v60, v28
	v_add_f32_e32 v63, v63, v28
	v_dual_add_f32 v67, v67, v28 :: v_dual_mul_f32 v40, 0xbf7ee86f, v30
	v_fmac_f32_e32 v39, 0xbe3c28d5, v37
	v_add_f32_e32 v37, v69, v29
	v_dual_add_f32 v29, v32, v29 :: v_dual_add_f32 v32, v33, v50
	v_fmamk_f32 v33, v31, 0x3f3d2fb0, v36
	v_fma_f32 v36, 0x3f3d2fb0, v31, -v36
	v_mul_f32_e32 v69, 0xbe3c28d5, v30
	s_delay_alu instid0(VALU_DEP_2) | instskip(SKIP_2) | instid1(VALU_DEP_2)
	v_add_f32_e32 v36, v36, v42
	v_fmamk_f32 v42, v31, 0x3dbcf732, v40
	v_fma_f32 v40, 0x3dbcf732, v31, -v40
	v_add_f32_e32 v42, v42, v53
	s_delay_alu instid0(VALU_DEP_2) | instskip(SKIP_3) | instid1(VALU_DEP_2)
	v_add_f32_e32 v40, v40, v44
	v_add_f32_e32 v28, v39, v28
	v_mul_f32_e32 v39, 0x3dbcf732, v68
	v_mul_f32_e32 v53, 0xbf4c4adb, v30
	v_dual_fmamk_f32 v50, v70, 0x3f7ee86f, v39 :: v_dual_add_f32 v33, v33, v51
	v_mul_f32_e32 v51, 0xbf1a4643, v68
	s_delay_alu instid0(VALU_DEP_2) | instskip(NEXT) | instid1(VALU_DEP_2)
	v_add_f32_e32 v50, v50, v52
	v_fmamk_f32 v52, v70, 0x3f4c4adb, v51
	s_delay_alu instid0(VALU_DEP_1) | instskip(SKIP_2) | instid1(VALU_DEP_2)
	v_add_f32_e32 v44, v52, v54
	v_fmamk_f32 v52, v31, 0xbf1a4643, v53
	v_fma_f32 v53, 0xbf1a4643, v31, -v53
	v_add_f32_e32 v52, v52, v55
	s_delay_alu instid0(VALU_DEP_2)
	v_add_f32_e32 v46, v53, v46
	v_fmac_f32_e32 v39, 0xbf7ee86f, v70
	v_fmac_f32_e32 v51, 0xbf4c4adb, v70
	v_fmamk_f32 v53, v31, 0xbf7ba420, v69
	v_fma_f32 v55, 0xbf7ba420, v31, -v69
	v_mul_f32_e32 v69, 0x3f65296c, v30
	v_add_f32_e32 v39, v39, v43
	v_mul_f32_e32 v43, 0xbf7ba420, v68
	s_delay_alu instid0(VALU_DEP_1) | instskip(SKIP_2) | instid1(VALU_DEP_3)
	v_dual_add_f32 v45, v51, v45 :: v_dual_fmamk_f32 v54, v70, 0x3e3c28d5, v43
	v_fmac_f32_e32 v43, 0xbe3c28d5, v70
	v_add_f32_e32 v53, v53, v57
	v_dual_add_f32 v51, v54, v56 :: v_dual_mul_f32 v56, 0x3f06c442, v30
	v_mul_f32_e32 v54, 0xbf59a7d5, v68
	s_delay_alu instid0(VALU_DEP_4) | instskip(SKIP_1) | instid1(VALU_DEP_4)
	v_add_f32_e32 v38, v43, v38
	v_add_f32_e32 v43, v55, v47
	v_fmamk_f32 v47, v31, 0xbf59a7d5, v56
	s_delay_alu instid0(VALU_DEP_4) | instskip(SKIP_1) | instid1(VALU_DEP_3)
	v_fmamk_f32 v57, v70, 0xbf06c442, v54
	v_fma_f32 v56, 0xbf59a7d5, v31, -v56
	v_dual_fmac_f32 v54, 0x3f06c442, v70 :: v_dual_add_f32 v47, v47, v59
	v_mul_f32_e32 v59, 0x3f763a35, v30
	v_mul_f32_e32 v55, 0xbe8c1d8e, v68
	v_add_f32_e32 v57, v57, v58
	v_dual_add_f32 v35, v56, v35 :: v_dual_mul_f32 v30, 0x3eb8f4ab, v30
	v_add_f32_e32 v49, v54, v49
	s_delay_alu instid0(VALU_DEP_4) | instskip(SKIP_2) | instid1(VALU_DEP_2)
	v_fmamk_f32 v58, v70, 0xbf763a35, v55
	v_fmac_f32_e32 v71, 0xbf2c7751, v70
	v_mul_f32_e32 v54, 0x3ee437d1, v68
	v_dual_add_f32 v56, v58, v60 :: v_dual_add_f32 v41, v71, v41
	v_fmamk_f32 v58, v31, 0xbe8c1d8e, v59
	v_fmac_f32_e32 v55, 0x3f763a35, v70
	v_fma_f32 v59, 0xbe8c1d8e, v31, -v59
	v_fmamk_f32 v60, v70, 0xbf65296c, v54
	v_fmac_f32_e32 v54, 0x3f65296c, v70
	v_add_f32_e32 v58, v58, v62
	v_add_f32_e32 v48, v55, v48
	;; [unrolled: 1-line block ×3, first 2 shown]
	v_mul_f32_e32 v61, 0x3f6eb680, v68
	v_dual_add_f32 v59, v60, v65 :: v_dual_fmamk_f32 v60, v31, 0x3ee437d1, v69
	v_fma_f32 v62, 0x3ee437d1, v31, -v69
	v_add_f32_e32 v54, v54, v63
	s_delay_alu instid0(VALU_DEP_4)
	v_fmamk_f32 v65, v70, 0xbeb8f4ab, v61
	v_add_f32_e32 v63, v24, v26
	v_add_f32_e32 v60, v60, v66
	v_fmamk_f32 v66, v31, 0x3f6eb680, v30
	v_add_f32_e32 v62, v62, v64
	v_add_f32_e32 v64, v65, v67
	v_sub_f32_e32 v24, v24, v26
	v_sub_f32_e32 v26, v25, v27
	v_mul_f32_e32 v65, 0x3ee437d1, v63
	v_fma_f32 v30, 0x3f6eb680, v31, -v30
	v_add_f32_e32 v37, v66, v37
	s_delay_alu instid0(VALU_DEP_3) | instskip(NEXT) | instid1(VALU_DEP_3)
	v_fmamk_f32 v31, v26, 0x3f65296c, v65
	v_dual_add_f32 v29, v30, v29 :: v_dual_mul_f32 v30, 0xbf1a4643, v63
	v_add_f32_e32 v25, v25, v27
	v_mul_f32_e32 v27, 0xbf65296c, v24
	s_delay_alu instid0(VALU_DEP_3) | instskip(SKIP_1) | instid1(VALU_DEP_2)
	v_dual_add_f32 v31, v31, v32 :: v_dual_fmamk_f32 v32, v26, 0x3f4c4adb, v30
	v_fmac_f32_e32 v30, 0xbf4c4adb, v26
	v_add_f32_e32 v32, v32, v50
	s_delay_alu instid0(VALU_DEP_2) | instskip(NEXT) | instid1(VALU_DEP_1)
	v_dual_fmac_f32 v61, 0x3eb8f4ab, v70 :: v_dual_add_f32 v30, v30, v39
	v_add_f32_e32 v28, v61, v28
	v_fmamk_f32 v61, v25, 0x3ee437d1, v27
	s_delay_alu instid0(VALU_DEP_1) | instskip(SKIP_1) | instid1(VALU_DEP_1)
	v_add_f32_e32 v33, v61, v33
	v_mul_f32_e32 v61, 0xbf4c4adb, v24
	v_fmamk_f32 v50, v25, 0xbf1a4643, v61
	v_fma_f32 v61, 0xbf1a4643, v25, -v61
	s_delay_alu instid0(VALU_DEP_2) | instskip(SKIP_1) | instid1(VALU_DEP_3)
	v_add_f32_e32 v42, v50, v42
	v_fmac_f32_e32 v65, 0xbf65296c, v26
	v_dual_mul_f32 v50, 0xbe8c1d8e, v63 :: v_dual_add_f32 v39, v61, v40
	s_delay_alu instid0(VALU_DEP_2) | instskip(SKIP_1) | instid1(VALU_DEP_1)
	v_add_f32_e32 v41, v65, v41
	v_mul_f32_e32 v65, 0x3e3c28d5, v24
	v_fmamk_f32 v40, v25, 0xbf7ba420, v65
	v_fma_f32 v61, 0xbf7ba420, v25, -v65
	v_fmamk_f32 v65, v26, 0xbf763a35, v50
	v_fmac_f32_e32 v50, 0x3f763a35, v26
	s_delay_alu instid0(VALU_DEP_4) | instskip(NEXT) | instid1(VALU_DEP_3)
	v_add_f32_e32 v40, v40, v52
	v_dual_mul_f32 v52, 0x3f763a35, v24 :: v_dual_add_f32 v51, v65, v51
	s_delay_alu instid0(VALU_DEP_3) | instskip(SKIP_1) | instid1(VALU_DEP_1)
	v_add_f32_e32 v38, v50, v38
	v_fma_f32 v27, 0x3ee437d1, v25, -v27
	v_dual_add_f32 v27, v27, v36 :: v_dual_mul_f32 v36, 0xbf7ba420, v63
	s_delay_alu instid0(VALU_DEP_1) | instskip(SKIP_1) | instid1(VALU_DEP_2)
	v_fmamk_f32 v66, v26, 0xbe3c28d5, v36
	v_fmac_f32_e32 v36, 0x3e3c28d5, v26
	v_add_f32_e32 v44, v66, v44
	s_delay_alu instid0(VALU_DEP_2) | instskip(SKIP_3) | instid1(VALU_DEP_3)
	v_dual_add_f32 v36, v36, v45 :: v_dual_add_f32 v45, v61, v46
	v_mul_f32_e32 v46, 0x3f3d2fb0, v63
	v_fmamk_f32 v61, v25, 0xbe8c1d8e, v52
	v_fma_f32 v52, 0xbe8c1d8e, v25, -v52
	v_fmamk_f32 v65, v26, 0xbf2c7751, v46
	s_delay_alu instid0(VALU_DEP_3) | instskip(SKIP_1) | instid1(VALU_DEP_3)
	v_add_f32_e32 v53, v61, v53
	v_dual_mul_f32 v61, 0x3f2c7751, v24 :: v_dual_fmac_f32 v46, 0x3f2c7751, v26
	v_dual_add_f32 v43, v52, v43 :: v_dual_add_f32 v50, v65, v57
	v_mul_f32_e32 v52, 0x3f6eb680, v63
	v_mul_f32_e32 v65, 0xbeb8f4ab, v24
	s_delay_alu instid0(VALU_DEP_4) | instskip(SKIP_3) | instid1(VALU_DEP_4)
	v_fmamk_f32 v57, v25, 0x3f3d2fb0, v61
	v_fma_f32 v61, 0x3f3d2fb0, v25, -v61
	v_add_f32_e32 v46, v46, v49
	v_fmamk_f32 v66, v26, 0x3eb8f4ab, v52
	v_dual_fmac_f32 v52, 0xbeb8f4ab, v26 :: v_dual_add_f32 v47, v57, v47
	v_fmamk_f32 v49, v25, 0x3f6eb680, v65
	v_add_f32_e32 v35, v61, v35
	v_fma_f32 v61, 0x3f6eb680, v25, -v65
	s_delay_alu instid0(VALU_DEP_4) | instskip(NEXT) | instid1(VALU_DEP_4)
	v_add_f32_e32 v48, v52, v48
	v_dual_add_f32 v56, v66, v56 :: v_dual_add_f32 v49, v49, v58
	v_mul_f32_e32 v58, 0xbf7ee86f, v24
	v_mul_f32_e32 v24, 0xbf06c442, v24
	v_add_f32_e32 v52, v61, v55
	v_mul_f32_e32 v55, 0xbf59a7d5, v63
	s_delay_alu instid0(VALU_DEP_4) | instskip(SKIP_1) | instid1(VALU_DEP_2)
	v_fmamk_f32 v61, v25, 0x3dbcf732, v58
	v_fma_f32 v58, 0x3dbcf732, v25, -v58
	v_dual_add_f32 v60, v61, v60 :: v_dual_add_f32 v61, v20, v22
	v_dual_mul_f32 v57, 0x3dbcf732, v63 :: v_dual_sub_f32 v20, v20, v22
	v_sub_f32_e32 v22, v21, v23
	v_add_f32_e32 v21, v21, v23
	s_delay_alu instid0(VALU_DEP_3) | instskip(SKIP_1) | instid1(VALU_DEP_1)
	v_fmamk_f32 v65, v26, 0x3f7ee86f, v57
	v_fmac_f32_e32 v57, 0xbf7ee86f, v26
	v_dual_mul_f32 v23, 0xbf7ee86f, v20 :: v_dual_add_f32 v54, v57, v54
	v_dual_add_f32 v57, v58, v62 :: v_dual_fmamk_f32 v62, v25, 0xbf59a7d5, v24
	v_fmamk_f32 v63, v26, 0x3f06c442, v55
	v_fmac_f32_e32 v55, 0xbf06c442, v26
	v_fma_f32 v24, 0xbf59a7d5, v25, -v24
	v_dual_mul_f32 v26, 0x3dbcf732, v61 :: v_dual_add_f32 v59, v65, v59
	s_delay_alu instid0(VALU_DEP_3) | instskip(NEXT) | instid1(VALU_DEP_3)
	v_add_f32_e32 v28, v55, v28
	v_dual_add_f32 v24, v24, v29 :: v_dual_fmamk_f32 v29, v21, 0x3dbcf732, v23
	v_mul_f32_e32 v55, 0xbf7ba420, v61
	v_fma_f32 v23, 0x3dbcf732, v21, -v23
	s_delay_alu instid0(VALU_DEP_3) | instskip(NEXT) | instid1(VALU_DEP_3)
	v_add_f32_e32 v29, v29, v33
	v_fmamk_f32 v33, v22, 0x3e3c28d5, v55
	v_fmac_f32_e32 v55, 0xbe3c28d5, v22
	s_delay_alu instid0(VALU_DEP_4) | instskip(NEXT) | instid1(VALU_DEP_3)
	v_add_f32_e32 v23, v23, v27
	v_dual_mul_f32 v27, 0xbe8c1d8e, v61 :: v_dual_add_f32 v32, v33, v32
	s_delay_alu instid0(VALU_DEP_3) | instskip(SKIP_4) | instid1(VALU_DEP_3)
	v_dual_add_f32 v30, v55, v30 :: v_dual_mul_f32 v55, 0x3eb8f4ab, v20
	v_add_f32_e32 v25, v62, v37
	v_fmamk_f32 v37, v22, 0x3f7ee86f, v26
	v_fmac_f32_e32 v26, 0xbf7ee86f, v22
	v_mul_f32_e32 v62, 0x3f763a35, v20
	v_dual_add_f32 v58, v63, v64 :: v_dual_add_f32 v31, v37, v31
	s_delay_alu instid0(VALU_DEP_3) | instskip(SKIP_1) | instid1(VALU_DEP_2)
	v_dual_mul_f32 v37, 0xbe3c28d5, v20 :: v_dual_add_f32 v26, v26, v41
	v_fmamk_f32 v41, v22, 0xbf763a35, v27
	v_fmamk_f32 v33, v21, 0xbf7ba420, v37
	v_fma_f32 v37, 0xbf7ba420, v21, -v37
	s_delay_alu instid0(VALU_DEP_1) | instskip(NEXT) | instid1(VALU_DEP_4)
	v_add_f32_e32 v37, v37, v39
	v_add_f32_e32 v39, v41, v44
	v_fmamk_f32 v41, v21, 0xbe8c1d8e, v62
	s_delay_alu instid0(VALU_DEP_1) | instskip(SKIP_4) | instid1(VALU_DEP_4)
	v_add_f32_e32 v40, v41, v40
	v_dual_add_f32 v33, v33, v42 :: v_dual_mul_f32 v42, 0x3f6eb680, v61
	v_fma_f32 v44, 0xbe8c1d8e, v21, -v62
	v_mul_f32_e32 v62, 0xbf06c442, v20
	v_fmac_f32_e32 v27, 0x3f763a35, v22
	v_fmamk_f32 v41, v22, 0xbeb8f4ab, v42
	s_delay_alu instid0(VALU_DEP_2)
	v_dual_fmac_f32 v42, 0x3eb8f4ab, v22 :: v_dual_add_f32 v27, v27, v36
	v_add_f32_e32 v36, v44, v45
	v_fmamk_f32 v44, v21, 0x3f6eb680, v55
	v_mul_f32_e32 v45, 0x3ee437d1, v61
	v_add_f32_e32 v41, v41, v51
	v_fma_f32 v51, 0x3f6eb680, v21, -v55
	s_delay_alu instid0(VALU_DEP_4) | instskip(NEXT) | instid1(VALU_DEP_4)
	v_dual_mul_f32 v55, 0xbf65296c, v20 :: v_dual_add_f32 v44, v44, v53
	v_fmamk_f32 v53, v22, 0x3f65296c, v45
	v_add_f32_e32 v38, v42, v38
	s_delay_alu instid0(VALU_DEP_3) | instskip(NEXT) | instid1(VALU_DEP_3)
	v_dual_add_f32 v42, v51, v43 :: v_dual_fmamk_f32 v51, v21, 0x3ee437d1, v55
	v_dual_mul_f32 v43, 0xbf59a7d5, v61 :: v_dual_add_f32 v50, v53, v50
	v_fma_f32 v53, 0x3ee437d1, v21, -v55
	s_delay_alu instid0(VALU_DEP_3) | instskip(SKIP_1) | instid1(VALU_DEP_3)
	v_add_f32_e32 v47, v51, v47
	v_fmamk_f32 v51, v21, 0xbf59a7d5, v62
	v_add_f32_e32 v35, v53, v35
	v_mul_f32_e32 v53, 0xbf1a4643, v61
	s_delay_alu instid0(VALU_DEP_3) | instskip(NEXT) | instid1(VALU_DEP_2)
	v_add_f32_e32 v49, v51, v49
	v_fmamk_f32 v51, v22, 0xbf4c4adb, v53
	v_fmac_f32_e32 v53, 0x3f4c4adb, v22
	s_delay_alu instid0(VALU_DEP_2) | instskip(NEXT) | instid1(VALU_DEP_2)
	v_add_f32_e32 v51, v51, v59
	v_add_f32_e32 v53, v53, v54
	;; [unrolled: 1-line block ×3, first 2 shown]
	v_sub_f32_e32 v16, v16, v18
	v_fmac_f32_e32 v45, 0xbf65296c, v22
	v_fmamk_f32 v55, v22, 0x3f06c442, v43
	v_fmac_f32_e32 v43, 0xbf06c442, v22
	s_delay_alu instid0(VALU_DEP_2) | instskip(SKIP_3) | instid1(VALU_DEP_3)
	v_dual_add_f32 v45, v45, v46 :: v_dual_add_f32 v46, v55, v56
	v_fma_f32 v56, 0xbf59a7d5, v21, -v62
	v_mul_f32_e32 v55, 0x3f4c4adb, v20
	v_mul_f32_e32 v20, 0x3f2c7751, v20
	v_add_f32_e32 v52, v56, v52
	v_mul_f32_e32 v56, 0x3f3d2fb0, v61
	s_delay_alu instid0(VALU_DEP_3) | instskip(NEXT) | instid1(VALU_DEP_2)
	v_fma_f32 v18, 0x3f3d2fb0, v21, -v20
	v_fmamk_f32 v59, v22, 0xbf2c7751, v56
	v_fmac_f32_e32 v56, 0x3f2c7751, v22
	s_delay_alu instid0(VALU_DEP_3) | instskip(NEXT) | instid1(VALU_DEP_2)
	v_add_f32_e32 v18, v18, v24
	v_add_f32_e32 v22, v56, v28
	v_mul_f32_e32 v56, 0xbf65296c, v16
	v_dual_add_f32 v43, v43, v48 :: v_dual_fmamk_f32 v48, v21, 0xbf1a4643, v55
	v_fma_f32 v55, 0xbf1a4643, v21, -v55
	v_mul_f32_e32 v28, 0x3f06c442, v16
	s_delay_alu instid0(VALU_DEP_2) | instskip(SKIP_3) | instid1(VALU_DEP_3)
	v_dual_add_f32 v48, v48, v60 :: v_dual_add_f32 v55, v55, v57
	v_dual_add_f32 v57, v59, v58 :: v_dual_fmamk_f32 v58, v21, 0x3f3d2fb0, v20
	v_dual_sub_f32 v59, v17, v19 :: v_dual_mul_f32 v60, 0xbe8c1d8e, v54
	v_dual_add_f32 v17, v17, v19 :: v_dual_mul_f32 v20, 0xbf763a35, v16
	v_add_f32_e32 v21, v58, v25
	v_mul_f32_e32 v25, 0xbf59a7d5, v54
	s_delay_alu instid0(VALU_DEP_4) | instskip(NEXT) | instid1(VALU_DEP_4)
	v_fmamk_f32 v19, v59, 0x3f763a35, v60
	v_fmamk_f32 v24, v17, 0xbe8c1d8e, v20
	v_fma_f32 v20, 0xbe8c1d8e, v17, -v20
	s_delay_alu instid0(VALU_DEP_2) | instskip(NEXT) | instid1(VALU_DEP_2)
	v_dual_add_f32 v19, v19, v31 :: v_dual_add_f32 v24, v24, v29
	v_dual_fmamk_f32 v29, v59, 0xbf06c442, v25 :: v_dual_add_f32 v20, v20, v23
	v_fmamk_f32 v23, v17, 0xbf59a7d5, v28
	v_mul_f32_e32 v31, 0x3f3d2fb0, v54
	v_fma_f32 v28, 0xbf59a7d5, v17, -v28
	s_delay_alu instid0(VALU_DEP_4) | instskip(NEXT) | instid1(VALU_DEP_4)
	v_add_f32_e32 v29, v29, v32
	v_add_f32_e32 v23, v23, v33
	s_delay_alu instid0(VALU_DEP_4) | instskip(SKIP_2) | instid1(VALU_DEP_3)
	v_fmamk_f32 v32, v59, 0xbf2c7751, v31
	v_mul_f32_e32 v33, 0x3f2c7751, v16
	v_dual_fmac_f32 v31, 0x3f2c7751, v59 :: v_dual_add_f32 v28, v28, v37
	v_add_f32_e32 v32, v32, v39
	s_delay_alu instid0(VALU_DEP_2) | instskip(NEXT) | instid1(VALU_DEP_4)
	v_add_f32_e32 v27, v31, v27
	v_fmamk_f32 v37, v17, 0x3f3d2fb0, v33
	v_fma_f32 v33, 0x3f3d2fb0, v17, -v33
	s_delay_alu instid0(VALU_DEP_2) | instskip(NEXT) | instid1(VALU_DEP_2)
	v_add_f32_e32 v37, v37, v40
	v_add_f32_e32 v31, v33, v36
	v_fmamk_f32 v36, v17, 0x3ee437d1, v56
	v_fma_f32 v40, 0x3ee437d1, v17, -v56
	v_mul_f32_e32 v56, 0xbeb8f4ab, v16
	v_fmac_f32_e32 v60, 0xbf763a35, v59
	s_delay_alu instid0(VALU_DEP_4) | instskip(NEXT) | instid1(VALU_DEP_2)
	v_add_f32_e32 v36, v36, v44
	v_dual_add_f32 v26, v60, v26 :: v_dual_fmac_f32 v25, 0x3f06c442, v59
	s_delay_alu instid0(VALU_DEP_1) | instskip(SKIP_1) | instid1(VALU_DEP_1)
	v_add_f32_e32 v25, v25, v30
	v_mul_f32_e32 v30, 0x3ee437d1, v54
	v_fmamk_f32 v39, v59, 0x3f65296c, v30
	s_delay_alu instid0(VALU_DEP_1) | instskip(SKIP_1) | instid1(VALU_DEP_2)
	v_dual_fmac_f32 v30, 0xbf65296c, v59 :: v_dual_add_f32 v33, v39, v41
	v_mul_f32_e32 v39, 0xbf7ba420, v54
	v_dual_add_f32 v30, v30, v38 :: v_dual_mul_f32 v41, 0xbe3c28d5, v16
	v_add_f32_e32 v38, v40, v42
	v_mul_f32_e32 v42, 0x3dbcf732, v54
	s_delay_alu instid0(VALU_DEP_4) | instskip(SKIP_3) | instid1(VALU_DEP_4)
	v_fmamk_f32 v44, v59, 0x3e3c28d5, v39
	v_fmac_f32_e32 v39, 0xbe3c28d5, v59
	v_fmamk_f32 v40, v17, 0xbf7ba420, v41
	v_fma_f32 v41, 0xbf7ba420, v17, -v41
	v_add_f32_e32 v44, v44, v50
	v_mul_f32_e32 v50, 0x3f7ee86f, v16
	s_delay_alu instid0(VALU_DEP_4) | instskip(NEXT) | instid1(VALU_DEP_4)
	v_dual_add_f32 v40, v40, v47 :: v_dual_fmamk_f32 v47, v59, 0xbf7ee86f, v42
	v_add_f32_e32 v35, v41, v35
	v_mul_f32_e32 v41, 0x3f6eb680, v54
	v_dual_add_f32 v39, v39, v45 :: v_dual_fmac_f32 v42, 0x3f7ee86f, v59
	s_delay_alu instid0(VALU_DEP_4) | instskip(SKIP_1) | instid1(VALU_DEP_4)
	v_dual_add_f32 v45, v47, v46 :: v_dual_fmamk_f32 v46, v17, 0x3dbcf732, v50
	v_fma_f32 v47, 0x3dbcf732, v17, -v50
	v_fmamk_f32 v50, v59, 0x3eb8f4ab, v41
	v_mul_f32_e32 v16, 0xbf4c4adb, v16
	v_fmac_f32_e32 v41, 0xbeb8f4ab, v59
	v_add_f32_e32 v42, v42, v43
	v_dual_add_f32 v46, v46, v49 :: v_dual_fmamk_f32 v49, v17, 0x3f6eb680, v56
	s_delay_alu instid0(VALU_DEP_3)
	v_add_f32_e32 v41, v41, v53
	v_add_f32_e32 v53, v12, v14
	v_sub_f32_e32 v12, v12, v14
	v_dual_sub_f32 v14, v13, v15 :: v_dual_add_f32 v43, v47, v52
	v_fmamk_f32 v52, v17, 0xbf1a4643, v16
	v_fma_f32 v16, 0xbf1a4643, v17, -v16
	v_add_f32_e32 v13, v13, v15
	v_dual_add_f32 v47, v50, v51 :: v_dual_mul_f32 v50, 0xbf1a4643, v54
	s_delay_alu instid0(VALU_DEP_4) | instskip(SKIP_4) | instid1(VALU_DEP_4)
	v_add_f32_e32 v21, v52, v21
	v_mul_f32_e32 v52, 0xbf1a4643, v53
	v_fma_f32 v51, 0x3f6eb680, v17, -v56
	v_add_f32_e32 v16, v16, v18
	v_mul_f32_e32 v18, 0xbe8c1d8e, v53
	v_dual_add_f32 v48, v49, v48 :: v_dual_fmamk_f32 v17, v14, 0x3f4c4adb, v52
	v_fmamk_f32 v49, v59, 0x3f4c4adb, v50
	v_fmac_f32_e32 v50, 0xbf4c4adb, v59
	v_dual_fmac_f32 v52, 0xbf4c4adb, v14 :: v_dual_add_f32 v51, v51, v55
	s_delay_alu instid0(VALU_DEP_4) | instskip(SKIP_3) | instid1(VALU_DEP_3)
	v_add_f32_e32 v17, v17, v19
	v_fmamk_f32 v19, v14, 0xbf763a35, v18
	v_fmac_f32_e32 v18, 0x3f763a35, v14
	v_dual_mul_f32 v15, 0xbf4c4adb, v12 :: v_dual_add_f32 v22, v50, v22
	v_dual_add_f32 v26, v52, v26 :: v_dual_add_f32 v19, v19, v29
	v_mul_f32_e32 v52, 0xbeb8f4ab, v12
	s_delay_alu instid0(VALU_DEP_3) | instskip(SKIP_2) | instid1(VALU_DEP_3)
	v_fmamk_f32 v50, v13, 0xbf1a4643, v15
	v_fma_f32 v15, 0xbf1a4643, v13, -v15
	v_add_f32_e32 v18, v18, v25
	v_add_f32_e32 v24, v50, v24
	v_mul_f32_e32 v50, 0x3f763a35, v12
	s_delay_alu instid0(VALU_DEP_4) | instskip(NEXT) | instid1(VALU_DEP_2)
	v_dual_add_f32 v15, v15, v20 :: v_dual_mul_f32 v20, 0x3f6eb680, v53
	v_fmamk_f32 v29, v13, 0xbe8c1d8e, v50
	v_fma_f32 v50, 0xbe8c1d8e, v13, -v50
	s_delay_alu instid0(VALU_DEP_3) | instskip(NEXT) | instid1(VALU_DEP_3)
	v_fmamk_f32 v54, v14, 0x3eb8f4ab, v20
	v_dual_fmac_f32 v20, 0xbeb8f4ab, v14 :: v_dual_add_f32 v23, v29, v23
	s_delay_alu instid0(VALU_DEP_3) | instskip(NEXT) | instid1(VALU_DEP_3)
	v_dual_add_f32 v25, v50, v28 :: v_dual_fmamk_f32 v28, v13, 0x3f6eb680, v52
	v_dual_add_f32 v29, v54, v32 :: v_dual_mul_f32 v32, 0xbf59a7d5, v53
	v_fma_f32 v50, 0x3f6eb680, v13, -v52
	s_delay_alu instid0(VALU_DEP_4) | instskip(NEXT) | instid1(VALU_DEP_4)
	v_add_f32_e32 v20, v20, v27
	v_dual_add_f32 v28, v28, v37 :: v_dual_mul_f32 v37, 0xbf06c442, v12
	s_delay_alu instid0(VALU_DEP_4) | instskip(NEXT) | instid1(VALU_DEP_4)
	v_fmamk_f32 v52, v14, 0x3f06c442, v32
	v_dual_add_f32 v27, v50, v31 :: v_dual_fmac_f32 v32, 0xbf06c442, v14
	v_mul_f32_e32 v31, 0x3dbcf732, v53
	s_delay_alu instid0(VALU_DEP_4)
	v_fmamk_f32 v50, v13, 0xbf59a7d5, v37
	v_fma_f32 v37, 0xbf59a7d5, v13, -v37
	v_add_f32_e32 v33, v52, v33
	v_add_f32_e32 v30, v32, v30
	v_fmamk_f32 v52, v14, 0xbf7ee86f, v31
	v_add_f32_e32 v36, v50, v36
	v_add_f32_e32 v32, v37, v38
	v_mul_f32_e32 v38, 0x3f3d2fb0, v53
	v_mul_f32_e32 v50, 0x3f7ee86f, v12
	v_add_f32_e32 v37, v52, v44
	v_fmac_f32_e32 v31, 0x3f7ee86f, v14
	v_mul_f32_e32 v52, 0xbf2c7751, v12
	v_fmamk_f32 v54, v14, 0x3f2c7751, v38
	v_fmac_f32_e32 v38, 0xbf2c7751, v14
	v_fmamk_f32 v44, v13, 0x3dbcf732, v50
	v_fma_f32 v50, 0x3dbcf732, v13, -v50
	v_add_f32_e32 v31, v31, v39
	s_delay_alu instid0(VALU_DEP_4) | instskip(NEXT) | instid1(VALU_DEP_4)
	v_dual_fmamk_f32 v39, v13, 0x3f3d2fb0, v52 :: v_dual_add_f32 v38, v38, v42
	v_dual_add_f32 v49, v49, v57 :: v_dual_add_f32 v40, v44, v40
	v_add_f32_e32 v44, v54, v45
	v_mul_f32_e32 v45, 0xbf7ba420, v53
	s_delay_alu instid0(VALU_DEP_4) | instskip(SKIP_2) | instid1(VALU_DEP_4)
	v_dual_add_f32 v39, v39, v46 :: v_dual_mul_f32 v46, 0xbe3c28d5, v12
	v_dual_mul_f32 v12, 0x3f65296c, v12 :: v_dual_add_f32 v35, v50, v35
	v_fma_f32 v50, 0x3f3d2fb0, v13, -v52
	v_fmamk_f32 v52, v14, 0x3e3c28d5, v45
	s_delay_alu instid0(VALU_DEP_2) | instskip(NEXT) | instid1(VALU_DEP_2)
	v_dual_add_f32 v42, v50, v43 :: v_dual_mul_f32 v43, 0x3ee437d1, v53
	v_dual_fmamk_f32 v50, v13, 0xbf7ba420, v46 :: v_dual_add_f32 v47, v52, v47
	v_fmac_f32_e32 v45, 0xbe3c28d5, v14
	v_fma_f32 v46, 0xbf7ba420, v13, -v46
	s_delay_alu instid0(VALU_DEP_4) | instskip(NEXT) | instid1(VALU_DEP_4)
	v_fmamk_f32 v52, v14, 0xbf65296c, v43
	v_add_f32_e32 v48, v50, v48
	v_fmamk_f32 v50, v13, 0x3ee437d1, v12
	v_add_f32_e32 v41, v45, v41
	s_delay_alu instid0(VALU_DEP_4)
	v_dual_add_f32 v45, v46, v51 :: v_dual_add_f32 v46, v52, v49
	v_add_f32_e32 v49, v8, v10
	v_sub_f32_e32 v8, v8, v10
	v_sub_f32_e32 v10, v9, v11
	v_fma_f32 v12, 0x3ee437d1, v13, -v12
	v_add_f32_e32 v9, v9, v11
	v_fmac_f32_e32 v43, 0x3f65296c, v14
	v_mul_f32_e32 v11, 0xbf06c442, v8
	v_mul_f32_e32 v14, 0xbf59a7d5, v49
	v_dual_add_f32 v13, v50, v21 :: v_dual_add_f32 v12, v12, v16
	v_mul_f32_e32 v50, 0xbf7ee86f, v8
	s_delay_alu instid0(VALU_DEP_4) | instskip(SKIP_4) | instid1(VALU_DEP_4)
	v_fmamk_f32 v16, v9, 0xbf59a7d5, v11
	v_fma_f32 v11, 0xbf59a7d5, v9, -v11
	v_fmamk_f32 v21, v10, 0x3f06c442, v14
	v_fmac_f32_e32 v14, 0xbf06c442, v10
	v_add_f32_e32 v22, v43, v22
	v_dual_add_f32 v16, v16, v24 :: v_dual_add_f32 v11, v11, v15
	s_delay_alu instid0(VALU_DEP_3) | instskip(SKIP_1) | instid1(VALU_DEP_2)
	v_dual_mul_f32 v15, 0x3dbcf732, v49 :: v_dual_add_f32 v14, v14, v26
	v_dual_add_f32 v17, v21, v17 :: v_dual_mul_f32 v24, 0x3f65296c, v8
	v_fmamk_f32 v26, v10, 0x3f7ee86f, v15
	v_mul_f32_e32 v43, 0x3ee437d1, v49
	v_fmac_f32_e32 v15, 0xbf7ee86f, v10
	s_delay_alu instid0(VALU_DEP_2) | instskip(NEXT) | instid1(VALU_DEP_1)
	v_fmamk_f32 v21, v10, 0xbf65296c, v43
	v_add_f32_e32 v19, v21, v19
	v_fmamk_f32 v21, v9, 0x3ee437d1, v24
	v_fma_f32 v24, 0x3ee437d1, v9, -v24
	s_delay_alu instid0(VALU_DEP_2) | instskip(NEXT) | instid1(VALU_DEP_2)
	v_add_f32_e32 v21, v21, v23
	v_add_f32_e32 v23, v24, v25
	v_dual_add_f32 v24, v26, v29 :: v_dual_fmamk_f32 v25, v9, 0x3dbcf732, v50
	v_mul_f32_e32 v26, 0xbf1a4643, v49
	v_fma_f32 v29, 0x3dbcf732, v9, -v50
	v_mul_f32_e32 v50, 0xbe3c28d5, v8
	s_delay_alu instid0(VALU_DEP_3) | instskip(SKIP_1) | instid1(VALU_DEP_2)
	v_dual_add_f32 v25, v25, v28 :: v_dual_fmamk_f32 v28, v10, 0xbf4c4adb, v26
	v_fmac_f32_e32 v26, 0x3f4c4adb, v10
	v_add_f32_e32 v28, v28, v33
	s_delay_alu instid0(VALU_DEP_2) | instskip(SKIP_1) | instid1(VALU_DEP_1)
	v_add_f32_e32 v26, v26, v30
	v_fmac_f32_e32 v43, 0x3f65296c, v10
	v_dual_add_f32 v18, v43, v18 :: v_dual_mul_f32 v43, 0x3f4c4adb, v8
	s_delay_alu instid0(VALU_DEP_1) | instskip(NEXT) | instid1(VALU_DEP_1)
	v_fma_f32 v33, 0xbf1a4643, v9, -v43
	v_add_f32_e32 v30, v33, v32
	v_dual_mul_f32 v32, 0xbf7ba420, v49 :: v_dual_add_f32 v15, v15, v20
	v_add_f32_e32 v20, v29, v27
	v_fmamk_f32 v27, v9, 0xbf1a4643, v43
	v_mul_f32_e32 v29, 0x3f6eb680, v49
	v_mul_f32_e32 v43, 0xbeb8f4ab, v8
	s_delay_alu instid0(VALU_DEP_2) | instskip(SKIP_1) | instid1(VALU_DEP_2)
	v_dual_add_f32 v27, v27, v36 :: v_dual_fmamk_f32 v36, v10, 0x3eb8f4ab, v29
	v_fmac_f32_e32 v29, 0xbeb8f4ab, v10
	v_dual_add_f32 v33, v36, v37 :: v_dual_fmamk_f32 v36, v9, 0x3f6eb680, v43
	v_fma_f32 v37, 0x3f6eb680, v9, -v43
	v_fmamk_f32 v43, v10, 0x3e3c28d5, v32
	s_delay_alu instid0(VALU_DEP_4) | instskip(NEXT) | instid1(VALU_DEP_4)
	v_dual_add_f32 v29, v29, v31 :: v_dual_fmac_f32 v32, 0xbe3c28d5, v10
	v_add_f32_e32 v36, v36, v40
	s_delay_alu instid0(VALU_DEP_4) | instskip(NEXT) | instid1(VALU_DEP_4)
	v_dual_mul_f32 v40, 0x3f3d2fb0, v49 :: v_dual_add_f32 v31, v37, v35
	v_add_f32_e32 v35, v43, v44
	v_fmamk_f32 v37, v9, 0xbf7ba420, v50
	v_fma_f32 v44, 0xbf7ba420, v9, -v50
	v_dual_mul_f32 v43, 0x3f2c7751, v8 :: v_dual_add_f32 v32, v32, v38
	s_delay_alu instid0(VALU_DEP_3) | instskip(NEXT) | instid1(VALU_DEP_3)
	v_dual_mul_f32 v8, 0xbf763a35, v8 :: v_dual_add_f32 v37, v37, v39
	v_dual_fmamk_f32 v39, v10, 0xbf2c7751, v40 :: v_dual_add_f32 v42, v44, v42
	v_mul_f32_e32 v44, 0xbe8c1d8e, v49
	v_fmac_f32_e32 v40, 0x3f2c7751, v10
	s_delay_alu instid0(VALU_DEP_3) | instskip(SKIP_1) | instid1(VALU_DEP_3)
	v_dual_fmamk_f32 v38, v9, 0x3f3d2fb0, v43 :: v_dual_add_f32 v39, v39, v47
	v_fma_f32 v43, 0x3f3d2fb0, v9, -v43
	v_dual_fmamk_f32 v47, v10, 0x3f763a35, v44 :: v_dual_add_f32 v40, v40, v41
	v_add_f32_e32 v41, v4, v6
	s_delay_alu instid0(VALU_DEP_3) | instskip(NEXT) | instid1(VALU_DEP_3)
	v_dual_sub_f32 v4, v4, v6 :: v_dual_add_f32 v43, v43, v45
	v_dual_add_f32 v45, v47, v46 :: v_dual_fmamk_f32 v46, v9, 0xbe8c1d8e, v8
	v_fma_f32 v6, 0xbe8c1d8e, v9, -v8
	s_delay_alu instid0(VALU_DEP_3) | instskip(SKIP_1) | instid1(VALU_DEP_4)
	v_dual_mul_f32 v8, 0xbe3c28d5, v4 :: v_dual_sub_f32 v47, v5, v7
	v_dual_add_f32 v5, v5, v7 :: v_dual_fmac_f32 v44, 0xbf763a35, v10
	v_add_f32_e32 v9, v46, v13
	s_delay_alu instid0(VALU_DEP_4) | instskip(NEXT) | instid1(VALU_DEP_3)
	v_dual_add_f32 v6, v6, v12 :: v_dual_mul_f32 v13, 0x3f6eb680, v41
	v_fmamk_f32 v12, v5, 0xbf7ba420, v8
	s_delay_alu instid0(VALU_DEP_4)
	v_add_f32_e32 v10, v44, v22
	v_mul_f32_e32 v22, 0xbf59a7d5, v41
	v_add_f32_e32 v38, v38, v48
	v_mul_f32_e32 v48, 0xbf7ba420, v41
	v_add_f32_e32 v12, v12, v16
	v_fmamk_f32 v16, v47, 0xbeb8f4ab, v13
	v_fmac_f32_e32 v13, 0x3eb8f4ab, v47
	v_mul_f32_e32 v44, 0x3f2c7751, v4
	s_delay_alu instid0(VALU_DEP_3) | instskip(NEXT) | instid1(VALU_DEP_3)
	v_dual_add_f32 v16, v16, v19 :: v_dual_fmamk_f32 v19, v47, 0x3f06c442, v22
	v_dual_add_f32 v13, v13, v18 :: v_dual_fmac_f32 v22, 0xbf06c442, v47
	v_mul_f32_e32 v18, 0x3f3d2fb0, v41
	v_fma_f32 v8, 0xbf7ba420, v5, -v8
	s_delay_alu instid0(VALU_DEP_4) | instskip(NEXT) | instid1(VALU_DEP_4)
	v_add_f32_e32 v19, v19, v24
	v_dual_add_f32 v15, v22, v15 :: v_dual_fmamk_f32 v22, v5, 0x3f3d2fb0, v44
	v_fmamk_f32 v7, v47, 0x3e3c28d5, v48
	s_delay_alu instid0(VALU_DEP_4) | instskip(SKIP_1) | instid1(VALU_DEP_3)
	v_dual_add_f32 v11, v8, v11 :: v_dual_fmamk_f32 v24, v47, 0xbf2c7751, v18
	v_fmac_f32_e32 v18, 0x3f2c7751, v47
	v_dual_add_f32 v22, v22, v27 :: v_dual_add_f32 v7, v7, v17
	v_mul_f32_e32 v17, 0x3eb8f4ab, v4
	v_fmac_f32_e32 v48, 0xbe3c28d5, v47
	s_delay_alu instid0(VALU_DEP_4) | instskip(NEXT) | instid1(VALU_DEP_3)
	v_add_f32_e32 v18, v18, v26
	v_fmamk_f32 v8, v5, 0x3f6eb680, v17
	v_fma_f32 v17, 0x3f6eb680, v5, -v17
	s_delay_alu instid0(VALU_DEP_4) | instskip(NEXT) | instid1(VALU_DEP_3)
	v_add_f32_e32 v14, v48, v14
	v_dual_add_f32 v8, v8, v21 :: v_dual_mul_f32 v21, 0xbf06c442, v4
	s_delay_alu instid0(VALU_DEP_3) | instskip(NEXT) | instid1(VALU_DEP_2)
	v_add_f32_e32 v17, v17, v23
	v_fmamk_f32 v23, v5, 0xbf59a7d5, v21
	v_fma_f32 v21, 0xbf59a7d5, v5, -v21
	s_delay_alu instid0(VALU_DEP_1) | instskip(SKIP_3) | instid1(VALU_DEP_3)
	v_dual_add_f32 v23, v23, v25 :: v_dual_add_f32 v20, v21, v20
	v_dual_add_f32 v21, v24, v28 :: v_dual_mul_f32 v24, 0xbf1a4643, v41
	v_fma_f32 v25, 0x3f3d2fb0, v5, -v44
	v_mul_f32_e32 v28, 0xbf4c4adb, v4
	v_fmamk_f32 v27, v47, 0x3f4c4adb, v24
	s_delay_alu instid0(VALU_DEP_3) | instskip(NEXT) | instid1(VALU_DEP_3)
	v_dual_add_f32 v25, v25, v30 :: v_dual_mul_f32 v30, 0x3ee437d1, v41
	v_fmamk_f32 v26, v5, 0xbf1a4643, v28
	v_fma_f32 v28, 0xbf1a4643, v5, -v28
	s_delay_alu instid0(VALU_DEP_4) | instskip(NEXT) | instid1(VALU_DEP_3)
	v_dual_add_f32 v27, v27, v33 :: v_dual_fmac_f32 v24, 0xbf4c4adb, v47
	v_dual_fmamk_f32 v33, v47, 0xbf65296c, v30 :: v_dual_add_f32 v26, v26, v36
	s_delay_alu instid0(VALU_DEP_3) | instskip(SKIP_1) | instid1(VALU_DEP_3)
	v_dual_mul_f32 v36, 0x3f65296c, v4 :: v_dual_add_f32 v31, v28, v31
	v_mul_f32_e32 v28, 0xbe8c1d8e, v41
	v_dual_add_f32 v24, v24, v29 :: v_dual_add_f32 v29, v33, v35
	s_delay_alu instid0(VALU_DEP_3) | instskip(SKIP_1) | instid1(VALU_DEP_4)
	v_fmamk_f32 v33, v5, 0x3ee437d1, v36
	v_fma_f32 v35, 0x3ee437d1, v5, -v36
	v_fmamk_f32 v36, v47, 0x3f763a35, v28
	v_mul_f32_e32 v44, 0xbf763a35, v4
	v_fmac_f32_e32 v28, 0xbf763a35, v47
	v_mul_f32_e32 v4, 0x3f7ee86f, v4
	v_fmac_f32_e32 v30, 0x3f65296c, v47
	s_delay_alu instid0(VALU_DEP_3) | instskip(NEXT) | instid1(VALU_DEP_3)
	v_add_f32_e32 v28, v28, v40
	v_fmamk_f32 v40, v5, 0x3dbcf732, v4
	v_fma_f32 v4, 0x3dbcf732, v5, -v4
	s_delay_alu instid0(VALU_DEP_4) | instskip(NEXT) | instid1(VALU_DEP_3)
	v_add_f32_e32 v30, v30, v32
	v_dual_add_f32 v32, v35, v42 :: v_dual_add_f32 v9, v40, v9
	s_delay_alu instid0(VALU_DEP_3)
	v_add_f32_e32 v4, v4, v6
	v_dual_add_f32 v48, v33, v37 :: v_dual_add_f32 v33, v36, v39
	v_fmamk_f32 v35, v5, 0xbe8c1d8e, v44
	v_mul_f32_e32 v37, 0x3dbcf732, v41
	v_fma_f32 v36, 0xbe8c1d8e, v5, -v44
	v_lshlrev_b32_e32 v44, 6, v0
	v_mad_u32_u24 v39, 0x44, v0, 0
	v_add_f32_e32 v35, v35, v38
	v_fmamk_f32 v38, v47, 0xbf7ee86f, v37
	v_fmac_f32_e32 v37, 0x3f7ee86f, v47
	ds_store_2addr_b32 v39, v34, v7 offset1:1
	ds_store_2addr_b32 v39, v16, v19 offset0:2 offset1:3
	ds_store_2addr_b32 v39, v21, v27 offset0:4 offset1:5
	;; [unrolled: 1-line block ×3, first 2 shown]
	v_sub_nc_u32_e32 v40, v39, v44
	v_dual_add_f32 v5, v38, v45 :: v_dual_add_f32 v10, v37, v10
	ds_store_2addr_b32 v39, v5, v10 offset0:8 offset1:9
	ds_store_2addr_b32 v39, v28, v30 offset0:10 offset1:11
	;; [unrolled: 1-line block ×4, first 2 shown]
	ds_store_b32 v39, v14 offset:64
	v_and_b32_e32 v5, 0xff, v0
	s_waitcnt lgkmcnt(0)
	s_barrier
	buffer_gl0_inv
	ds_load_2addr_b32 v[15:16], v40 offset1:51
	ds_load_2addr_b32 v[27:28], v40 offset0:102 offset1:153
	v_mul_lo_u16 v5, 0xf1, v5
	v_add_nc_u32_e32 v18, 0x400, v40
	v_add_nc_u32_e32 v13, 0x600, v40
	;; [unrolled: 1-line block ×3, first 2 shown]
	ds_load_2addr_b32 v[29:30], v40 offset0:204 offset1:255
	v_lshrrev_b16 v7, 12, v5
	ds_load_2addr_b32 v[33:34], v18 offset0:50 offset1:101
	ds_load_2addr_b32 v[37:38], v18 offset0:152 offset1:203
	ds_load_2addr_b32 v[45:46], v13 offset0:126 offset1:177
	ds_load_2addr_b32 v[49:50], v14 offset0:100 offset1:151
	ds_load_2addr_b32 v[73:74], v14 offset0:202 offset1:253
	ds_load_b32 v87, v40 offset:3264
	s_waitcnt lgkmcnt(0)
	v_mul_lo_u16 v5, v7, 17
	s_barrier
	buffer_gl0_inv
	ds_store_2addr_b32 v39, v1, v12 offset1:1
	ds_store_2addr_b32 v39, v8, v23 offset0:2 offset1:3
	ds_store_2addr_b32 v39, v22, v26 offset0:4 offset1:5
	;; [unrolled: 1-line block ×3, first 2 shown]
	v_add_f32_e32 v36, v36, v43
	v_sub_nc_u16 v5, v0, v5
	ds_store_2addr_b32 v39, v9, v4 offset0:8 offset1:9
	ds_store_2addr_b32 v39, v36, v32 offset0:10 offset1:11
	;; [unrolled: 1-line block ×4, first 2 shown]
	ds_store_b32 v39, v11 offset:64
	v_and_b32_e32 v8, 0xff, v5
	s_waitcnt lgkmcnt(0)
	s_barrier
	buffer_gl0_inv
	v_sub_nc_u32_e32 v44, 0, v44
	v_lshlrev_b32_e32 v1, 7, v8
	s_clause 0x7
	global_load_b128 v[9:12], v1, s[4:5]
	global_load_b128 v[19:22], v1, s[4:5] offset:16
	global_load_b128 v[23:26], v1, s[4:5] offset:32
	;; [unrolled: 1-line block ×7, first 2 shown]
	v_and_b32_e32 v7, 0xffff, v7
	v_add_nc_u32_e32 v44, v39, v44
                                        ; implicit-def: $vgpr39
	s_delay_alu instid0(VALU_DEP_2)
	v_mul_u32_u24_e32 v7, 0x484, v7
	s_waitcnt vmcnt(7)
	v_mul_f32_e32 v47, v27, v12
	v_mul_f32_e32 v51, v16, v10
	ds_load_2addr_b32 v[5:6], v40 offset1:51
	ds_load_2addr_b32 v[31:32], v40 offset0:102 offset1:153
	ds_load_2addr_b32 v[75:76], v40 offset0:204 offset1:255
	;; [unrolled: 1-line block ×7, first 2 shown]
	s_waitcnt vmcnt(6)
	v_dual_mul_f32 v42, v28, v20 :: v_dual_mul_f32 v35, v29, v22
	ds_load_b32 v4, v40 offset:3264
	v_lshlrev_b32_e32 v8, 2, v8
	s_waitcnt vmcnt(0) lgkmcnt(0)
	s_barrier
	buffer_gl0_inv
	v_dual_mul_f32 v1, v6, v10 :: v_dual_mul_f32 v10, v31, v12
	v_fmac_f32_e32 v51, v6, v9
	v_fmac_f32_e32 v47, v31, v11
	;; [unrolled: 1-line block ×3, first 2 shown]
	s_delay_alu instid0(VALU_DEP_4) | instskip(SKIP_3) | instid1(VALU_DEP_4)
	v_fma_f32 v52, v16, v9, -v1
	v_dual_mul_f32 v1, v32, v20 :: v_dual_mul_f32 v20, v38, v58
	v_fma_f32 v48, v27, v11, -v10
	v_mul_f32_e32 v9, v76, v24
	v_add_f32_e32 v6, v15, v52
	s_delay_alu instid0(VALU_DEP_4)
	v_fma_f32 v43, v28, v19, -v1
	v_mul_f32_e32 v1, v75, v22
	v_mul_f32_e32 v10, v80, v58
	v_fma_f32 v32, v30, v23, -v9
	v_add_f32_e32 v6, v6, v48
	v_mul_f32_e32 v9, v78, v54
	v_fma_f32 v36, v29, v21, -v1
	v_fma_f32 v22, v38, v57, -v10
	v_mul_f32_e32 v10, v82, v62
	v_dual_add_f32 v1, v6, v43 :: v_dual_mul_f32 v6, v77, v26
	v_dual_mul_f32 v31, v30, v24 :: v_dual_fmac_f32 v20, v80, v57
	v_mul_f32_e32 v29, v46, v62
	s_delay_alu instid0(VALU_DEP_3)
	v_add_f32_e32 v1, v1, v36
	v_fmac_f32_e32 v35, v75, v21
	v_fma_f32 v28, v33, v25, -v6
	v_fma_f32 v30, v46, v61, -v10
	v_mul_f32_e32 v46, v73, v68
	v_add_f32_e32 v6, v1, v32
	v_mul_f32_e32 v27, v33, v26
	v_fma_f32 v24, v34, v53, -v9
	v_mul_f32_e32 v9, v79, v56
	v_dual_mul_f32 v1, v37, v56 :: v_dual_mul_f32 v10, v84, v66
	v_dual_add_f32 v6, v6, v28 :: v_dual_fmac_f32 v31, v76, v23
	s_delay_alu instid0(VALU_DEP_3) | instskip(SKIP_2) | instid1(VALU_DEP_4)
	v_fma_f32 v21, v37, v55, -v9
	v_mul_f32_e32 v9, v81, v60
	v_mul_f32_e32 v23, v34, v54
	v_add_f32_e32 v6, v6, v24
	v_mul_f32_e32 v33, v49, v64
	v_fma_f32 v41, v50, v65, -v10
	v_fma_f32 v26, v45, v59, -v9
	s_delay_alu instid0(VALU_DEP_4) | instskip(SKIP_3) | instid1(VALU_DEP_4)
	v_dual_mul_f32 v9, v83, v64 :: v_dual_add_f32 v6, v6, v21
	v_fmac_f32_e32 v27, v77, v25
	v_mul_f32_e32 v25, v45, v60
	v_fmac_f32_e32 v46, v85, v67
	v_fma_f32 v34, v49, v63, -v9
	v_dual_add_f32 v6, v6, v22 :: v_dual_mul_f32 v9, v85, v68
	s_delay_alu instid0(VALU_DEP_1) | instskip(SKIP_1) | instid1(VALU_DEP_3)
	v_dual_mul_f32 v49, v87, v72 :: v_dual_add_f32 v6, v6, v26
	v_fmac_f32_e32 v1, v79, v55
	v_fma_f32 v45, v73, v67, -v9
	v_mul_f32_e32 v9, v4, v72
	s_delay_alu instid0(VALU_DEP_4) | instskip(SKIP_1) | instid1(VALU_DEP_3)
	v_dual_fmac_f32 v49, v4, v71 :: v_dual_add_f32 v6, v6, v30
	v_mul_f32_e32 v4, v86, v70
	v_fma_f32 v54, v87, v71, -v9
	v_fmac_f32_e32 v23, v78, v53
	s_delay_alu instid0(VALU_DEP_4) | instskip(NEXT) | instid1(VALU_DEP_4)
	v_dual_add_f32 v6, v6, v34 :: v_dual_fmac_f32 v25, v81, v59
	v_fma_f32 v53, v74, v69, -v4
	s_delay_alu instid0(VALU_DEP_4) | instskip(NEXT) | instid1(VALU_DEP_3)
	v_dual_add_f32 v10, v52, v54 :: v_dual_sub_f32 v9, v51, v49
	v_add_f32_e32 v6, v6, v41
	s_delay_alu instid0(VALU_DEP_2) | instskip(NEXT) | instid1(VALU_DEP_2)
	v_mul_f32_e32 v56, 0xbf4c4adb, v9
	v_add_f32_e32 v4, v6, v45
	s_delay_alu instid0(VALU_DEP_2) | instskip(NEXT) | instid1(VALU_DEP_2)
	v_fma_f32 v58, 0xbf1a4643, v10, -v56
	v_add_f32_e32 v4, v4, v53
	v_dual_fmac_f32 v29, v82, v61 :: v_dual_fmac_f32 v56, 0xbf1a4643, v10
	v_mul_f32_e32 v19, 0xbf7ee86f, v9
	s_delay_alu instid0(VALU_DEP_3) | instskip(SKIP_1) | instid1(VALU_DEP_4)
	v_dual_mul_f32 v13, 0xbf2c7751, v9 :: v_dual_add_f32 v6, v4, v54
	v_mul_f32_e32 v4, 0xbf65296c, v9
	v_add_f32_e32 v56, v15, v56
	s_delay_alu instid0(VALU_DEP_4) | instskip(NEXT) | instid1(VALU_DEP_4)
	v_fma_f32 v38, 0x3dbcf732, v10, -v19
	v_fma_f32 v16, 0x3f3d2fb0, v10, -v13
	v_add_f32_e32 v58, v15, v58
	v_fma_f32 v17, 0x3ee437d1, v10, -v4
	v_fmac_f32_e32 v4, 0x3ee437d1, v10
	v_dual_mul_f32 v11, 0xbeb8f4ab, v9 :: v_dual_add_f32 v38, v15, v38
	v_dual_mul_f32 v59, 0xbf06c442, v9 :: v_dual_add_f32 v16, v15, v16
	s_delay_alu instid0(VALU_DEP_3) | instskip(NEXT) | instid1(VALU_DEP_3)
	v_add_f32_e32 v4, v15, v4
	v_fma_f32 v12, 0x3f6eb680, v10, -v11
	v_mul_f32_e32 v37, v50, v66
	v_dual_mul_f32 v50, v74, v70 :: v_dual_fmac_f32 v33, v83, v63
	v_fma_f32 v60, 0xbf59a7d5, v10, -v59
	v_fmac_f32_e32 v11, 0x3f6eb680, v10
	v_add_f32_e32 v63, v48, v53
	s_delay_alu instid0(VALU_DEP_4) | instskip(SKIP_3) | instid1(VALU_DEP_4)
	v_fmac_f32_e32 v50, v86, v69
	v_dual_add_f32 v12, v15, v12 :: v_dual_fmac_f32 v37, v84, v65
	v_mul_f32_e32 v55, 0xbf763a35, v9
	v_mul_f32_e32 v9, 0xbe3c28d5, v9
	v_sub_f32_e32 v61, v47, v50
	v_add_f32_e32 v60, v15, v60
	v_add_f32_e32 v11, v15, v11
	v_fmac_f32_e32 v59, 0xbf59a7d5, v10
	v_fma_f32 v62, 0xbf7ba420, v10, -v9
	v_mul_f32_e32 v64, 0xbf2c7751, v61
	v_fmac_f32_e32 v13, 0x3f3d2fb0, v10
	v_fmac_f32_e32 v19, 0x3dbcf732, v10
	v_fma_f32 v57, 0xbe8c1d8e, v10, -v55
	v_fmac_f32_e32 v55, 0xbe8c1d8e, v10
	v_fma_f32 v65, 0x3f3d2fb0, v63, -v64
	v_add_f32_e32 v59, v15, v59
	v_dual_fmac_f32 v64, 0x3f3d2fb0, v63 :: v_dual_add_f32 v13, v15, v13
	s_delay_alu instid0(VALU_DEP_3)
	v_dual_add_f32 v19, v15, v19 :: v_dual_add_f32 v12, v65, v12
	v_fmac_f32_e32 v9, 0xbf7ba420, v10
	v_add_f32_e32 v10, v15, v62
	v_mul_f32_e32 v62, 0xbf7ee86f, v61
	v_add_f32_e32 v17, v15, v17
	v_add_f32_e32 v11, v64, v11
	;; [unrolled: 1-line block ×3, first 2 shown]
	s_delay_alu instid0(VALU_DEP_4) | instskip(SKIP_1) | instid1(VALU_DEP_2)
	v_fma_f32 v66, 0x3dbcf732, v63, -v62
	v_fmac_f32_e32 v62, 0x3dbcf732, v63
	v_add_f32_e32 v16, v66, v16
	s_delay_alu instid0(VALU_DEP_2) | instskip(SKIP_2) | instid1(VALU_DEP_2)
	v_add_f32_e32 v13, v62, v13
	v_mul_f32_e32 v62, 0x3f06c442, v61
	v_add_f32_e32 v57, v15, v57
	v_fma_f32 v66, 0xbf59a7d5, v63, -v62
	s_delay_alu instid0(VALU_DEP_1) | instskip(SKIP_3) | instid1(VALU_DEP_2)
	v_dual_fmac_f32 v62, 0xbf59a7d5, v63 :: v_dual_add_f32 v57, v66, v57
	v_add_f32_e32 v66, v43, v45
	v_add_f32_e32 v55, v15, v55
	v_mul_f32_e32 v15, 0xbf4c4adb, v61
	v_add_f32_e32 v55, v62, v55
	s_delay_alu instid0(VALU_DEP_2) | instskip(SKIP_2) | instid1(VALU_DEP_2)
	v_fma_f32 v64, 0xbf1a4643, v63, -v15
	v_fmac_f32_e32 v15, 0xbf1a4643, v63
	v_mul_f32_e32 v62, 0x3f65296c, v61
	v_dual_add_f32 v17, v64, v17 :: v_dual_add_f32 v4, v15, v4
	v_mul_f32_e32 v65, 0xbe3c28d5, v61
	v_mul_f32_e32 v15, 0x3f763a35, v61
	s_delay_alu instid0(VALU_DEP_2) | instskip(NEXT) | instid1(VALU_DEP_1)
	v_fma_f32 v64, 0xbf7ba420, v63, -v65
	v_add_f32_e32 v38, v64, v38
	s_delay_alu instid0(VALU_DEP_3) | instskip(NEXT) | instid1(VALU_DEP_1)
	v_fma_f32 v64, 0xbe8c1d8e, v63, -v15
	v_dual_fmac_f32 v15, 0xbe8c1d8e, v63 :: v_dual_add_f32 v58, v64, v58
	s_delay_alu instid0(VALU_DEP_1) | instskip(SKIP_2) | instid1(VALU_DEP_2)
	v_dual_add_f32 v15, v15, v56 :: v_dual_sub_f32 v56, v42, v46
	v_fma_f32 v64, 0x3ee437d1, v63, -v62
	v_fmac_f32_e32 v62, 0x3ee437d1, v63
	v_dual_mul_f32 v61, 0x3eb8f4ab, v61 :: v_dual_add_f32 v60, v64, v60
	v_fmac_f32_e32 v65, 0xbf7ba420, v63
	s_delay_alu instid0(VALU_DEP_1) | instskip(NEXT) | instid1(VALU_DEP_3)
	v_add_f32_e32 v19, v65, v19
	v_fma_f32 v65, 0x3f6eb680, v63, -v61
	v_fmac_f32_e32 v61, 0x3f6eb680, v63
	s_delay_alu instid0(VALU_DEP_2) | instskip(NEXT) | instid1(VALU_DEP_2)
	v_dual_mul_f32 v63, 0xbf4c4adb, v56 :: v_dual_add_f32 v10, v65, v10
	v_add_f32_e32 v9, v61, v9
	v_mul_f32_e32 v61, 0x3e3c28d5, v56
	v_mul_f32_e32 v65, 0x3f763a35, v56
	s_delay_alu instid0(VALU_DEP_2) | instskip(SKIP_1) | instid1(VALU_DEP_1)
	v_fma_f32 v64, 0xbf7ba420, v66, -v61
	v_fmac_f32_e32 v61, 0xbf7ba420, v66
	v_dual_add_f32 v17, v64, v17 :: v_dual_add_f32 v4, v61, v4
	v_mul_f32_e32 v61, 0xbeb8f4ab, v56
	s_delay_alu instid0(VALU_DEP_1) | instskip(SKIP_1) | instid1(VALU_DEP_1)
	v_fma_f32 v64, 0x3f6eb680, v66, -v61
	v_fmac_f32_e32 v61, 0x3f6eb680, v66
	v_dual_add_f32 v58, v64, v58 :: v_dual_add_f32 v15, v61, v15
	v_sub_f32_e32 v61, v35, v37
	v_mul_f32_e32 v67, 0xbf65296c, v56
	s_delay_alu instid0(VALU_DEP_2) | instskip(NEXT) | instid1(VALU_DEP_2)
	v_dual_add_f32 v59, v62, v59 :: v_dual_mul_f32 v64, 0xbf7ee86f, v61
	v_fma_f32 v62, 0x3ee437d1, v66, -v67
	s_delay_alu instid0(VALU_DEP_1) | instskip(SKIP_1) | instid1(VALU_DEP_1)
	v_add_f32_e32 v12, v62, v12
	v_fma_f32 v62, 0xbf1a4643, v66, -v63
	v_dual_fmac_f32 v63, 0xbf1a4643, v66 :: v_dual_add_f32 v16, v62, v16
	s_delay_alu instid0(VALU_DEP_1) | instskip(SKIP_3) | instid1(VALU_DEP_3)
	v_add_f32_e32 v13, v63, v13
	v_fma_f32 v62, 0xbe8c1d8e, v66, -v65
	v_mul_f32_e32 v63, 0x3f2c7751, v56
	v_fmac_f32_e32 v65, 0xbe8c1d8e, v66
	v_add_f32_e32 v38, v62, v38
	s_delay_alu instid0(VALU_DEP_3) | instskip(NEXT) | instid1(VALU_DEP_3)
	v_fma_f32 v62, 0x3f3d2fb0, v66, -v63
	v_add_f32_e32 v19, v65, v19
	v_mul_f32_e32 v65, 0xbf7ee86f, v56
	v_mul_f32_e32 v56, 0xbf06c442, v56
	v_fmac_f32_e32 v63, 0x3f3d2fb0, v66
	v_add_f32_e32 v57, v62, v57
	s_delay_alu instid0(VALU_DEP_4) | instskip(NEXT) | instid1(VALU_DEP_1)
	v_fma_f32 v62, 0x3dbcf732, v66, -v65
	v_dual_fmac_f32 v65, 0x3dbcf732, v66 :: v_dual_add_f32 v60, v62, v60
	v_fma_f32 v62, 0xbf59a7d5, v66, -v56
	v_fmac_f32_e32 v56, 0xbf59a7d5, v66
	s_delay_alu instid0(VALU_DEP_2) | instskip(SKIP_3) | instid1(VALU_DEP_2)
	v_add_f32_e32 v10, v62, v10
	v_dual_mul_f32 v62, 0xbe3c28d5, v61 :: v_dual_add_f32 v55, v63, v55
	v_add_f32_e32 v63, v36, v41
	v_fmac_f32_e32 v67, 0x3ee437d1, v66
	v_fma_f32 v66, 0xbf7ba420, v63, -v62
	v_dual_fmac_f32 v62, 0xbf7ba420, v63 :: v_dual_add_f32 v9, v56, v9
	v_dual_mul_f32 v56, 0x3f763a35, v61 :: v_dual_add_f32 v59, v65, v59
	v_fma_f32 v65, 0x3dbcf732, v63, -v64
	s_delay_alu instid0(VALU_DEP_3) | instskip(SKIP_4) | instid1(VALU_DEP_4)
	v_add_f32_e32 v13, v62, v13
	v_mul_f32_e32 v62, 0xbf65296c, v61
	v_fmac_f32_e32 v64, 0x3dbcf732, v63
	v_add_f32_e32 v16, v66, v16
	v_dual_add_f32 v12, v65, v12 :: v_dual_mul_f32 v65, 0x3eb8f4ab, v61
	v_fma_f32 v66, 0x3ee437d1, v63, -v62
	v_fmac_f32_e32 v62, 0x3ee437d1, v63
	v_add_f32_e32 v11, v67, v11
	s_delay_alu instid0(VALU_DEP_2) | instskip(NEXT) | instid1(VALU_DEP_2)
	v_add_f32_e32 v55, v62, v55
	v_add_f32_e32 v11, v64, v11
	v_fma_f32 v64, 0xbe8c1d8e, v63, -v56
	v_fmac_f32_e32 v56, 0xbe8c1d8e, v63
	v_mul_f32_e32 v62, 0x3f4c4adb, v61
	s_delay_alu instid0(VALU_DEP_3) | instskip(SKIP_1) | instid1(VALU_DEP_4)
	v_add_f32_e32 v17, v64, v17
	v_fma_f32 v64, 0x3f6eb680, v63, -v65
	v_add_f32_e32 v4, v56, v4
	v_mul_f32_e32 v56, 0xbf06c442, v61
	v_fmac_f32_e32 v65, 0x3f6eb680, v63
	s_delay_alu instid0(VALU_DEP_4) | instskip(NEXT) | instid1(VALU_DEP_3)
	v_dual_mul_f32 v61, 0x3f2c7751, v61 :: v_dual_add_f32 v38, v64, v38
	v_fma_f32 v64, 0xbf59a7d5, v63, -v56
	v_fmac_f32_e32 v56, 0xbf59a7d5, v63
	s_delay_alu instid0(VALU_DEP_4) | instskip(NEXT) | instid1(VALU_DEP_4)
	v_add_f32_e32 v19, v65, v19
	v_fma_f32 v65, 0x3f3d2fb0, v63, -v61
	s_delay_alu instid0(VALU_DEP_4) | instskip(NEXT) | instid1(VALU_DEP_4)
	v_dual_fmac_f32 v61, 0x3f3d2fb0, v63 :: v_dual_add_f32 v58, v64, v58
	v_dual_add_f32 v15, v56, v15 :: v_dual_sub_f32 v56, v31, v33
	v_fma_f32 v64, 0xbf1a4643, v63, -v62
	v_dual_fmac_f32 v62, 0xbf1a4643, v63 :: v_dual_add_f32 v57, v66, v57
	s_delay_alu instid0(VALU_DEP_4) | instskip(NEXT) | instid1(VALU_DEP_4)
	v_dual_add_f32 v66, v32, v34 :: v_dual_add_f32 v9, v61, v9
	v_mul_f32_e32 v61, 0x3f2c7751, v56
	s_delay_alu instid0(VALU_DEP_4) | instskip(SKIP_2) | instid1(VALU_DEP_4)
	v_add_f32_e32 v60, v64, v60
	v_mul_f32_e32 v67, 0xbf763a35, v56
	v_dual_mul_f32 v63, 0x3f06c442, v56 :: v_dual_add_f32 v10, v65, v10
	v_fma_f32 v64, 0x3f3d2fb0, v66, -v61
	v_fmac_f32_e32 v61, 0x3f3d2fb0, v66
	v_mul_f32_e32 v65, 0xbf65296c, v56
	s_delay_alu instid0(VALU_DEP_2) | instskip(SKIP_1) | instid1(VALU_DEP_1)
	v_dual_add_f32 v17, v64, v17 :: v_dual_add_f32 v4, v61, v4
	v_mul_f32_e32 v61, 0x3f7ee86f, v56
	v_fma_f32 v64, 0x3dbcf732, v66, -v61
	v_fmac_f32_e32 v61, 0x3dbcf732, v66
	s_delay_alu instid0(VALU_DEP_1) | instskip(SKIP_1) | instid1(VALU_DEP_1)
	v_dual_add_f32 v58, v64, v58 :: v_dual_add_f32 v15, v61, v15
	v_sub_f32_e32 v61, v27, v29
	v_dual_mul_f32 v64, 0xbf4c4adb, v61 :: v_dual_add_f32 v59, v62, v59
	v_fma_f32 v62, 0xbe8c1d8e, v66, -v67
	s_delay_alu instid0(VALU_DEP_1) | instskip(SKIP_1) | instid1(VALU_DEP_1)
	v_add_f32_e32 v12, v62, v12
	v_fma_f32 v62, 0xbf59a7d5, v66, -v63
	v_dual_fmac_f32 v63, 0xbf59a7d5, v66 :: v_dual_add_f32 v16, v62, v16
	s_delay_alu instid0(VALU_DEP_1) | instskip(SKIP_3) | instid1(VALU_DEP_3)
	v_add_f32_e32 v13, v63, v13
	v_fma_f32 v62, 0x3ee437d1, v66, -v65
	v_mul_f32_e32 v63, 0xbe3c28d5, v56
	v_fmac_f32_e32 v65, 0x3ee437d1, v66
	v_add_f32_e32 v38, v62, v38
	s_delay_alu instid0(VALU_DEP_3) | instskip(NEXT) | instid1(VALU_DEP_3)
	v_fma_f32 v62, 0xbf7ba420, v66, -v63
	v_add_f32_e32 v19, v65, v19
	v_mul_f32_e32 v65, 0xbeb8f4ab, v56
	v_mul_f32_e32 v56, 0xbf4c4adb, v56
	v_fmac_f32_e32 v63, 0xbf7ba420, v66
	v_add_f32_e32 v57, v62, v57
	s_delay_alu instid0(VALU_DEP_4) | instskip(SKIP_1) | instid1(VALU_DEP_4)
	v_fma_f32 v62, 0x3f6eb680, v66, -v65
	v_fmac_f32_e32 v65, 0x3f6eb680, v66
	v_add_f32_e32 v55, v63, v55
	s_delay_alu instid0(VALU_DEP_3) | instskip(SKIP_3) | instid1(VALU_DEP_3)
	v_dual_add_f32 v63, v28, v30 :: v_dual_add_f32 v60, v62, v60
	v_fma_f32 v62, 0xbf1a4643, v66, -v56
	v_fmac_f32_e32 v67, 0xbe8c1d8e, v66
	v_fmac_f32_e32 v56, 0xbf1a4643, v66
	v_add_f32_e32 v10, v62, v10
	v_mul_f32_e32 v62, 0x3f763a35, v61
	s_delay_alu instid0(VALU_DEP_1) | instskip(SKIP_1) | instid1(VALU_DEP_2)
	v_fma_f32 v66, 0xbe8c1d8e, v63, -v62
	v_fmac_f32_e32 v62, 0xbe8c1d8e, v63
	v_add_f32_e32 v16, v66, v16
	s_delay_alu instid0(VALU_DEP_2) | instskip(SKIP_1) | instid1(VALU_DEP_1)
	v_add_f32_e32 v13, v62, v13
	v_dual_mul_f32 v62, 0x3f7ee86f, v61 :: v_dual_add_f32 v11, v67, v11
	v_fma_f32 v66, 0x3dbcf732, v63, -v62
	v_dual_fmac_f32 v62, 0x3dbcf732, v63 :: v_dual_add_f32 v9, v56, v9
	v_mul_f32_e32 v56, 0xbeb8f4ab, v61
	s_delay_alu instid0(VALU_DEP_3) | instskip(NEXT) | instid1(VALU_DEP_3)
	v_add_f32_e32 v57, v66, v57
	v_dual_add_f32 v55, v62, v55 :: v_dual_mul_f32 v62, 0xbe3c28d5, v61
	v_add_f32_e32 v59, v65, v59
	v_fma_f32 v65, 0xbf1a4643, v63, -v64
	v_fmac_f32_e32 v64, 0xbf1a4643, v63
	v_add_f32_e32 v66, v24, v26
	s_delay_alu instid0(VALU_DEP_2) | instskip(SKIP_2) | instid1(VALU_DEP_2)
	v_dual_add_f32 v12, v65, v12 :: v_dual_add_f32 v11, v64, v11
	v_fma_f32 v64, 0x3f6eb680, v63, -v56
	v_mul_f32_e32 v65, 0xbf06c442, v61
	v_dual_fmac_f32 v56, 0x3f6eb680, v63 :: v_dual_add_f32 v17, v64, v17
	s_delay_alu instid0(VALU_DEP_2) | instskip(NEXT) | instid1(VALU_DEP_2)
	v_fma_f32 v64, 0xbf59a7d5, v63, -v65
	v_add_f32_e32 v4, v56, v4
	v_mul_f32_e32 v56, 0xbf2c7751, v61
	v_fmac_f32_e32 v65, 0xbf59a7d5, v63
	s_delay_alu instid0(VALU_DEP_4) | instskip(NEXT) | instid1(VALU_DEP_3)
	v_dual_mul_f32 v61, 0x3f65296c, v61 :: v_dual_add_f32 v38, v64, v38
	v_fma_f32 v64, 0x3f3d2fb0, v63, -v56
	v_fmac_f32_e32 v56, 0x3f3d2fb0, v63
	s_delay_alu instid0(VALU_DEP_4) | instskip(NEXT) | instid1(VALU_DEP_4)
	v_add_f32_e32 v19, v65, v19
	v_fma_f32 v65, 0x3ee437d1, v63, -v61
	s_delay_alu instid0(VALU_DEP_4) | instskip(NEXT) | instid1(VALU_DEP_4)
	v_dual_fmac_f32 v61, 0x3ee437d1, v63 :: v_dual_add_f32 v58, v64, v58
	v_dual_add_f32 v15, v56, v15 :: v_dual_sub_f32 v56, v23, v25
	v_fma_f32 v64, 0xbf7ba420, v63, -v62
	s_delay_alu instid0(VALU_DEP_3) | instskip(NEXT) | instid1(VALU_DEP_3)
	v_dual_fmac_f32 v62, 0xbf7ba420, v63 :: v_dual_add_f32 v9, v61, v9
	v_dual_add_f32 v10, v65, v10 :: v_dual_mul_f32 v67, 0xbf06c442, v56
	v_mul_f32_e32 v63, 0x3f65296c, v56
	s_delay_alu instid0(VALU_DEP_3) | instskip(SKIP_4) | instid1(VALU_DEP_4)
	v_add_f32_e32 v59, v62, v59
	v_mul_f32_e32 v61, 0xbf7ee86f, v56
	v_mul_f32_e32 v65, 0x3f4c4adb, v56
	v_fma_f32 v62, 0xbf59a7d5, v66, -v67
	v_dual_add_f32 v60, v64, v60 :: v_dual_fmac_f32 v67, 0xbf59a7d5, v66
	v_fma_f32 v64, 0x3dbcf732, v66, -v61
	s_delay_alu instid0(VALU_DEP_3) | instskip(SKIP_2) | instid1(VALU_DEP_4)
	v_dual_fmac_f32 v61, 0x3dbcf732, v66 :: v_dual_add_f32 v12, v62, v12
	v_fma_f32 v62, 0x3ee437d1, v66, -v63
	v_fmac_f32_e32 v63, 0x3ee437d1, v66
	v_add_f32_e32 v17, v64, v17
	s_delay_alu instid0(VALU_DEP_4) | instskip(SKIP_1) | instid1(VALU_DEP_4)
	v_add_f32_e32 v61, v61, v4
	v_mul_f32_e32 v4, 0xbe3c28d5, v56
	v_dual_add_f32 v16, v62, v16 :: v_dual_add_f32 v13, v63, v13
	v_fma_f32 v62, 0xbf1a4643, v66, -v65
	v_mul_f32_e32 v63, 0xbeb8f4ab, v56
	v_fmac_f32_e32 v65, 0xbf1a4643, v66
	v_fma_f32 v64, 0xbf7ba420, v66, -v4
	v_fmac_f32_e32 v4, 0xbf7ba420, v66
	v_add_f32_e32 v62, v62, v38
	v_fma_f32 v38, 0x3f6eb680, v66, -v63
	v_add_f32_e32 v19, v65, v19
	v_fmac_f32_e32 v63, 0x3f6eb680, v66
	v_mul_f32_e32 v65, 0x3f2c7751, v56
	s_delay_alu instid0(VALU_DEP_4) | instskip(SKIP_1) | instid1(VALU_DEP_4)
	v_dual_mul_f32 v56, 0xbf763a35, v56 :: v_dual_add_f32 v57, v38, v57
	v_add_f32_e32 v15, v4, v15
	v_add_f32_e32 v55, v63, v55
	s_delay_alu instid0(VALU_DEP_4) | instskip(SKIP_3) | instid1(VALU_DEP_4)
	v_fma_f32 v38, 0x3f3d2fb0, v66, -v65
	v_sub_f32_e32 v63, v1, v20
	v_fma_f32 v4, 0xbe8c1d8e, v66, -v56
	v_add_f32_e32 v58, v64, v58
	v_dual_fmac_f32 v65, 0x3f3d2fb0, v66 :: v_dual_add_f32 v60, v38, v60
	v_add_f32_e32 v64, v21, v22
	v_mul_f32_e32 v38, 0xbe3c28d5, v63
	v_fmac_f32_e32 v56, 0xbe8c1d8e, v66
	v_add_f32_e32 v10, v4, v10
	v_mul_f32_e32 v4, 0x3eb8f4ab, v63
	v_add_f32_e32 v11, v67, v11
	v_add_f32_e32 v59, v65, v59
	v_fma_f32 v65, 0xbf7ba420, v64, -v38
	v_dual_fmac_f32 v38, 0xbf7ba420, v64 :: v_dual_add_f32 v9, v56, v9
	v_mul_f32_e32 v56, 0xbf06c442, v63
	v_fma_f32 v66, 0x3f6eb680, v64, -v4
	v_fmac_f32_e32 v4, 0x3f6eb680, v64
	v_add_f32_e32 v12, v65, v12
	v_add_f32_e32 v38, v38, v11
	v_fma_f32 v11, 0xbf59a7d5, v64, -v56
	v_fmac_f32_e32 v56, 0xbf59a7d5, v64
	v_dual_mul_f32 v65, 0x3f2c7751, v63 :: v_dual_add_f32 v4, v4, v13
	v_mul_f32_e32 v13, 0xbf4c4adb, v63
	s_delay_alu instid0(VALU_DEP_4) | instskip(NEXT) | instid1(VALU_DEP_4)
	v_add_f32_e32 v11, v11, v17
	v_add_f32_e32 v17, v56, v61
	s_delay_alu instid0(VALU_DEP_4) | instskip(SKIP_2) | instid1(VALU_DEP_3)
	v_fma_f32 v56, 0x3f3d2fb0, v64, -v65
	v_dual_mul_f32 v61, 0x3f65296c, v63 :: v_dual_add_f32 v16, v66, v16
	v_fma_f32 v66, 0xbf1a4643, v64, -v13
	v_dual_fmac_f32 v13, 0xbf1a4643, v64 :: v_dual_add_f32 v56, v56, v62
	s_delay_alu instid0(VALU_DEP_3) | instskip(SKIP_2) | instid1(VALU_DEP_4)
	v_fma_f32 v62, 0x3ee437d1, v64, -v61
	v_fmac_f32_e32 v61, 0x3ee437d1, v64
	v_fmac_f32_e32 v65, 0x3f3d2fb0, v64
	v_add_f32_e32 v13, v13, v55
	s_delay_alu instid0(VALU_DEP_4) | instskip(SKIP_3) | instid1(VALU_DEP_4)
	v_dual_mul_f32 v55, 0xbf763a35, v63 :: v_dual_add_f32 v58, v62, v58
	v_mul_f32_e32 v62, 0x3f7ee86f, v63
	v_add_f32_e32 v15, v61, v15
	v_add_f32_e32 v57, v66, v57
	v_fma_f32 v61, 0xbe8c1d8e, v64, -v55
	v_fmac_f32_e32 v55, 0xbe8c1d8e, v64
	v_fma_f32 v63, 0x3dbcf732, v64, -v62
	v_dual_fmac_f32 v62, 0x3dbcf732, v64 :: v_dual_add_f32 v19, v65, v19
	s_delay_alu instid0(VALU_DEP_3) | instskip(SKIP_2) | instid1(VALU_DEP_4)
	v_dual_add_f32 v60, v61, v60 :: v_dual_add_f32 v59, v55, v59
	v_add3_u32 v55, 0, v7, v8
	v_add_nc_u32_e32 v8, 0x200, v40
	v_dual_add_f32 v10, v63, v10 :: v_dual_add_f32 v7, v62, v9
	ds_store_2addr_b32 v55, v6, v12 offset1:17
	ds_store_2addr_b32 v55, v16, v11 offset0:34 offset1:51
	ds_store_2addr_b32 v55, v56, v57 offset0:68 offset1:85
	;; [unrolled: 1-line block ×7, first 2 shown]
	ds_store_b32 v55, v38 offset:1088
	s_waitcnt lgkmcnt(0)
	s_barrier
	buffer_gl0_inv
	ds_load_2addr_b32 v[6:7], v40 offset1:51
	ds_load_2addr_b32 v[16:17], v8 offset0:76 offset1:161
	ds_load_2addr_b32 v[10:11], v14 offset0:66 offset1:117
	;; [unrolled: 1-line block ×6, first 2 shown]
	ds_load_b32 v40, v40 offset:3128
	s_and_saveexec_b32 s1, s0
	s_cbranch_execz .LBB0_13
; %bb.12:
	ds_load_b32 v4, v44 offset:1020
	ds_load_b32 v38, v44 offset:2176
	;; [unrolled: 1-line block ×3, first 2 shown]
.LBB0_13:
	s_or_b32 exec_lo, exec_lo, s1
	v_dual_add_f32 v56, v5, v51 :: v_dual_add_f32 v51, v51, v49
	v_sub_f32_e32 v52, v52, v54
	v_add_f32_e32 v54, v47, v50
	v_sub_f32_e32 v43, v43, v45
	s_delay_alu instid0(VALU_DEP_4)
	v_add_f32_e32 v47, v56, v47
	v_sub_f32_e32 v21, v21, v22
	s_waitcnt lgkmcnt(0)
	s_barrier
	buffer_gl0_inv
	v_add_f32_e32 v47, v47, v42
	v_add_f32_e32 v42, v42, v46
	v_sub_f32_e32 v36, v36, v41
	v_sub_f32_e32 v32, v32, v34
	s_delay_alu instid0(VALU_DEP_4) | instskip(SKIP_3) | instid1(VALU_DEP_4)
	v_dual_sub_f32 v28, v28, v30 :: v_dual_add_f32 v47, v47, v35
	v_mul_f32_e32 v60, 0xbf4c4adb, v52
	v_mul_f32_e32 v56, 0xbf2c7751, v52
	v_dual_sub_f32 v48, v48, v53 :: v_dual_mul_f32 v53, 0xbeb8f4ab, v52
	v_dual_add_f32 v47, v47, v31 :: v_dual_mul_f32 v58, 0xbf7ee86f, v52
	v_mul_f32_e32 v61, 0xbf06c442, v52
	s_delay_alu instid0(VALU_DEP_4) | instskip(SKIP_1) | instid1(VALU_DEP_4)
	v_fmamk_f32 v68, v51, 0x3f3d2fb0, v56
	v_fma_f32 v56, 0x3f3d2fb0, v51, -v56
	v_add_f32_e32 v47, v47, v27
	v_fmamk_f32 v70, v51, 0x3dbcf732, v58
	v_mul_f32_e32 v57, 0xbf65296c, v52
	v_fma_f32 v58, 0x3dbcf732, v51, -v58
	v_mul_f32_e32 v59, 0xbf763a35, v52
	v_dual_mul_f32 v52, 0xbe3c28d5, v52 :: v_dual_add_f32 v47, v47, v23
	v_mul_f32_e32 v62, 0xbf2c7751, v48
	v_dual_add_f32 v70, v5, v70 :: v_dual_fmamk_f32 v69, v51, 0x3ee437d1, v57
	s_delay_alu instid0(VALU_DEP_3)
	v_dual_add_f32 v56, v5, v56 :: v_dual_add_f32 v47, v47, v1
	v_fma_f32 v57, 0x3ee437d1, v51, -v57
	v_fmamk_f32 v74, v51, 0xbf7ba420, v52
	v_fmamk_f32 v67, v51, 0x3f6eb680, v53
	v_fma_f32 v53, 0x3f6eb680, v51, -v53
	v_add_f32_e32 v47, v47, v20
	v_dual_fmamk_f32 v72, v51, 0xbf1a4643, v60 :: v_dual_add_f32 v69, v5, v69
	v_fma_f32 v60, 0xbf1a4643, v51, -v60
	v_add_f32_e32 v57, v5, v57
	v_dual_add_f32 v58, v5, v58 :: v_dual_fmamk_f32 v71, v51, 0xbe8c1d8e, v59
	s_delay_alu instid0(VALU_DEP_4)
	v_add_f32_e32 v72, v5, v72
	v_fma_f32 v59, 0xbe8c1d8e, v51, -v59
	v_dual_add_f32 v74, v5, v74 :: v_dual_fmamk_f32 v73, v51, 0xbf59a7d5, v61
	v_add_f32_e32 v60, v5, v60
	v_fma_f32 v61, 0xbf59a7d5, v51, -v61
	v_fma_f32 v51, 0xbf7ba420, v51, -v52
	v_fmamk_f32 v52, v54, 0x3f3d2fb0, v62
	v_dual_mul_f32 v64, 0xbf4c4adb, v48 :: v_dual_add_f32 v47, v47, v25
	v_add_f32_e32 v53, v5, v53
	v_add_f32_e32 v68, v5, v68
	v_dual_mul_f32 v66, 0x3f06c442, v48 :: v_dual_add_f32 v67, v5, v67
	s_delay_alu instid0(VALU_DEP_4)
	v_dual_fmamk_f32 v76, v54, 0xbf1a4643, v64 :: v_dual_add_f32 v47, v47, v29
	v_fma_f32 v64, 0xbf1a4643, v54, -v64
	v_fma_f32 v62, 0x3f3d2fb0, v54, -v62
	v_mul_f32_e32 v63, 0xbf7ee86f, v48
	v_mul_f32_e32 v65, 0xbe3c28d5, v48
	v_add_f32_e32 v47, v47, v33
	v_dual_add_f32 v57, v64, v57 :: v_dual_fmamk_f32 v64, v54, 0xbf59a7d5, v66
	v_add_f32_e32 v61, v5, v61
	v_add_f32_e32 v35, v35, v37
	s_delay_alu instid0(VALU_DEP_4)
	v_add_f32_e32 v47, v47, v37
	v_mul_f32_e32 v37, 0xbf7ee86f, v36
	v_add_f32_e32 v31, v31, v33
	v_add_f32_e32 v27, v27, v29
	;; [unrolled: 1-line block ×3, first 2 shown]
	v_dual_add_f32 v47, v47, v46 :: v_dual_mul_f32 v46, 0xbf65296c, v43
	v_add_f32_e32 v23, v23, v25
	v_mul_f32_e32 v29, 0xbf4c4adb, v28
	s_delay_alu instid0(VALU_DEP_3)
	v_dual_mul_f32 v20, 0xbe3c28d5, v21 :: v_dual_add_f32 v47, v47, v50
	v_add_f32_e32 v50, v62, v53
	v_fmamk_f32 v75, v54, 0x3dbcf732, v63
	v_fma_f32 v63, 0x3dbcf732, v54, -v63
	v_add_f32_e32 v71, v5, v71
	v_add_f32_e32 v73, v5, v73
	v_dual_add_f32 v47, v47, v49 :: v_dual_sub_f32 v24, v24, v26
	s_delay_alu instid0(VALU_DEP_4)
	v_dual_add_f32 v53, v63, v56 :: v_dual_add_f32 v56, v76, v69
	v_fma_f32 v62, 0xbf7ba420, v54, -v65
	v_mul_f32_e32 v63, 0x3f763a35, v48
	v_add_f32_e32 v59, v5, v59
	v_fmamk_f32 v49, v54, 0xbf7ba420, v65
	v_fma_f32 v65, 0xbf59a7d5, v54, -v66
	v_add_f32_e32 v58, v62, v58
	v_fmamk_f32 v62, v54, 0xbe8c1d8e, v63
	v_fma_f32 v63, 0xbe8c1d8e, v54, -v63
	v_add_f32_e32 v5, v5, v51
	v_add_f32_e32 v51, v52, v67
	;; [unrolled: 1-line block ×3, first 2 shown]
	v_mul_f32_e32 v65, 0x3f65296c, v48
	v_mul_f32_e32 v48, 0x3eb8f4ab, v48
	v_add_f32_e32 v52, v75, v68
	v_add_f32_e32 v64, v64, v71
	s_delay_alu instid0(VALU_DEP_4)
	v_dual_add_f32 v60, v63, v60 :: v_dual_fmamk_f32 v45, v54, 0x3ee437d1, v65
	v_fma_f32 v63, 0x3ee437d1, v54, -v65
	v_fmamk_f32 v65, v54, 0x3f6eb680, v48
	v_fma_f32 v48, 0x3f6eb680, v54, -v48
	v_add_f32_e32 v62, v62, v72
	v_mul_f32_e32 v66, 0x3f763a35, v43
	v_dual_add_f32 v54, v63, v61 :: v_dual_fmamk_f32 v63, v42, 0x3ee437d1, v46
	s_delay_alu instid0(VALU_DEP_4) | instskip(SKIP_2) | instid1(VALU_DEP_4)
	v_add_f32_e32 v5, v48, v5
	v_fma_f32 v46, 0x3ee437d1, v42, -v46
	v_dual_mul_f32 v48, 0x3e3c28d5, v43 :: v_dual_add_f32 v61, v65, v74
	v_add_f32_e32 v51, v63, v51
	s_delay_alu instid0(VALU_DEP_3) | instskip(NEXT) | instid1(VALU_DEP_3)
	v_dual_mul_f32 v25, 0xbf06c442, v24 :: v_dual_add_f32 v46, v46, v50
	v_fmamk_f32 v50, v42, 0xbf7ba420, v48
	v_fma_f32 v48, 0xbf7ba420, v42, -v48
	s_delay_alu instid0(VALU_DEP_2) | instskip(SKIP_1) | instid1(VALU_DEP_3)
	v_add_f32_e32 v50, v50, v56
	v_fmamk_f32 v56, v42, 0xbe8c1d8e, v66
	v_dual_mul_f32 v65, 0xbf4c4adb, v43 :: v_dual_add_f32 v48, v48, v57
	v_mul_f32_e32 v57, 0xbeb8f4ab, v43
	s_delay_alu instid0(VALU_DEP_2) | instskip(SKIP_1) | instid1(VALU_DEP_2)
	v_fmamk_f32 v63, v42, 0xbf1a4643, v65
	v_fma_f32 v65, 0xbf1a4643, v42, -v65
	v_dual_add_f32 v49, v49, v70 :: v_dual_add_f32 v52, v63, v52
	s_delay_alu instid0(VALU_DEP_2) | instskip(SKIP_4) | instid1(VALU_DEP_4)
	v_add_f32_e32 v53, v65, v53
	v_fma_f32 v65, 0xbe8c1d8e, v42, -v66
	v_mul_f32_e32 v63, 0x3f2c7751, v43
	v_mul_f32_e32 v66, 0xbf7ee86f, v43
	;; [unrolled: 1-line block ×3, first 2 shown]
	v_dual_add_f32 v49, v56, v49 :: v_dual_add_f32 v58, v65, v58
	v_fmamk_f32 v65, v42, 0x3f6eb680, v57
	v_fma_f32 v57, 0x3f6eb680, v42, -v57
	v_dual_add_f32 v45, v45, v73 :: v_dual_fmamk_f32 v56, v42, 0x3f3d2fb0, v63
	v_fma_f32 v63, 0x3f3d2fb0, v42, -v63
	v_fma_f32 v41, 0x3dbcf732, v42, -v66
	s_delay_alu instid0(VALU_DEP_4) | instskip(NEXT) | instid1(VALU_DEP_3)
	v_dual_add_f32 v57, v57, v60 :: v_dual_fmamk_f32 v60, v42, 0xbf59a7d5, v43
	v_dual_add_f32 v56, v56, v64 :: v_dual_add_f32 v59, v63, v59
	v_fmamk_f32 v63, v42, 0x3dbcf732, v66
	s_delay_alu instid0(VALU_DEP_4) | instskip(SKIP_4) | instid1(VALU_DEP_4)
	v_add_f32_e32 v41, v41, v54
	v_fma_f32 v42, 0xbf59a7d5, v42, -v43
	v_dual_add_f32 v43, v60, v61 :: v_dual_mul_f32 v54, 0xbe3c28d5, v36
	v_fmamk_f32 v60, v35, 0x3dbcf732, v37
	v_fma_f32 v37, 0x3dbcf732, v35, -v37
	v_dual_add_f32 v5, v42, v5 :: v_dual_mul_f32 v42, 0x3f763a35, v36
	s_delay_alu instid0(VALU_DEP_4) | instskip(NEXT) | instid1(VALU_DEP_3)
	v_fmamk_f32 v61, v35, 0xbf7ba420, v54
	v_add_f32_e32 v37, v37, v46
	v_fma_f32 v46, 0xbf7ba420, v35, -v54
	s_delay_alu instid0(VALU_DEP_3) | instskip(NEXT) | instid1(VALU_DEP_2)
	v_add_f32_e32 v52, v61, v52
	v_dual_add_f32 v46, v46, v53 :: v_dual_mul_f32 v53, 0xbf65296c, v36
	s_delay_alu instid0(VALU_DEP_1) | instskip(NEXT) | instid1(VALU_DEP_1)
	v_fmamk_f32 v61, v35, 0x3ee437d1, v53
	v_dual_add_f32 v56, v61, v56 :: v_dual_add_f32 v51, v60, v51
	v_fmamk_f32 v54, v35, 0xbe8c1d8e, v42
	v_mul_f32_e32 v60, 0x3eb8f4ab, v36
	v_fma_f32 v42, 0xbe8c1d8e, v35, -v42
	v_fma_f32 v53, 0x3ee437d1, v35, -v53
	s_delay_alu instid0(VALU_DEP_4) | instskip(NEXT) | instid1(VALU_DEP_4)
	v_add_f32_e32 v50, v54, v50
	v_fmamk_f32 v54, v35, 0x3f6eb680, v60
	s_delay_alu instid0(VALU_DEP_4) | instskip(SKIP_2) | instid1(VALU_DEP_4)
	v_add_f32_e32 v42, v42, v48
	v_fma_f32 v48, 0x3f6eb680, v35, -v60
	v_mul_f32_e32 v60, 0xbf06c442, v36
	v_dual_add_f32 v62, v65, v62 :: v_dual_add_f32 v49, v54, v49
	s_delay_alu instid0(VALU_DEP_3) | instskip(SKIP_1) | instid1(VALU_DEP_4)
	v_dual_add_f32 v53, v53, v59 :: v_dual_add_f32 v48, v48, v58
	v_add_f32_e32 v45, v63, v45
	v_fmamk_f32 v54, v35, 0xbf59a7d5, v60
	v_fma_f32 v58, 0xbf59a7d5, v35, -v60
	v_mul_f32_e32 v59, 0x3f4c4adb, v36
	v_mul_f32_e32 v36, 0x3f2c7751, v36
	s_delay_alu instid0(VALU_DEP_4) | instskip(NEXT) | instid1(VALU_DEP_3)
	v_add_f32_e32 v54, v54, v62
	v_dual_add_f32 v57, v58, v57 :: v_dual_fmamk_f32 v34, v35, 0xbf1a4643, v59
	v_fma_f32 v58, 0xbf1a4643, v35, -v59
	s_delay_alu instid0(VALU_DEP_4) | instskip(SKIP_3) | instid1(VALU_DEP_4)
	v_fmamk_f32 v59, v35, 0x3f3d2fb0, v36
	v_mul_f32_e32 v33, 0xbf763a35, v32
	v_fma_f32 v35, 0x3f3d2fb0, v35, -v36
	v_add_f32_e32 v34, v34, v45
	v_dual_add_f32 v36, v58, v41 :: v_dual_add_f32 v41, v59, v43
	s_delay_alu instid0(VALU_DEP_4) | instskip(NEXT) | instid1(VALU_DEP_4)
	v_fmamk_f32 v43, v31, 0xbe8c1d8e, v33
	v_add_f32_e32 v5, v35, v5
	v_fma_f32 v33, 0xbe8c1d8e, v31, -v33
	v_mul_f32_e32 v35, 0x3f2c7751, v32
	v_mul_f32_e32 v45, 0x3f06c442, v32
	v_dual_add_f32 v43, v43, v51 :: v_dual_mul_f32 v58, 0xbf65296c, v32
	s_delay_alu instid0(VALU_DEP_4) | instskip(NEXT) | instid1(VALU_DEP_4)
	v_add_f32_e32 v33, v33, v37
	v_fmamk_f32 v37, v31, 0x3f3d2fb0, v35
	v_fma_f32 v35, 0x3f3d2fb0, v31, -v35
	s_delay_alu instid0(VALU_DEP_2) | instskip(NEXT) | instid1(VALU_DEP_2)
	v_add_f32_e32 v37, v37, v50
	v_dual_add_f32 v35, v35, v42 :: v_dual_mul_f32 v42, 0x3f7ee86f, v32
	v_fmamk_f32 v51, v31, 0xbf59a7d5, v45
	v_fma_f32 v45, 0xbf59a7d5, v31, -v45
	v_mul_f32_e32 v50, 0xbe3c28d5, v32
	s_delay_alu instid0(VALU_DEP_3) | instskip(SKIP_1) | instid1(VALU_DEP_4)
	v_add_f32_e32 v51, v51, v52
	v_fma_f32 v52, 0x3ee437d1, v31, -v58
	v_dual_add_f32 v45, v45, v46 :: v_dual_fmamk_f32 v46, v31, 0x3ee437d1, v58
	v_mul_f32_e32 v58, 0xbeb8f4ab, v32
	v_mul_f32_e32 v32, 0xbf4c4adb, v32
	s_delay_alu instid0(VALU_DEP_4) | instskip(SKIP_4) | instid1(VALU_DEP_4)
	v_add_f32_e32 v48, v52, v48
	v_fmamk_f32 v52, v31, 0x3dbcf732, v42
	v_add_f32_e32 v46, v46, v49
	v_fma_f32 v30, 0x3f6eb680, v31, -v58
	v_fma_f32 v42, 0x3dbcf732, v31, -v42
	v_dual_add_f32 v52, v52, v54 :: v_dual_fmamk_f32 v49, v31, 0xbf7ba420, v50
	v_fma_f32 v50, 0xbf7ba420, v31, -v50
	s_delay_alu instid0(VALU_DEP_4) | instskip(SKIP_2) | instid1(VALU_DEP_4)
	v_add_f32_e32 v30, v30, v36
	v_mul_f32_e32 v36, 0x3f763a35, v28
	v_add_f32_e32 v42, v42, v57
	v_dual_add_f32 v50, v50, v53 :: v_dual_fmamk_f32 v53, v31, 0x3f6eb680, v58
	s_delay_alu instid0(VALU_DEP_1) | instskip(SKIP_1) | instid1(VALU_DEP_2)
	v_dual_add_f32 v34, v53, v34 :: v_dual_fmamk_f32 v53, v31, 0xbf1a4643, v32
	v_fma_f32 v31, 0xbf1a4643, v31, -v32
	v_dual_add_f32 v32, v53, v41 :: v_dual_fmamk_f32 v41, v27, 0xbf1a4643, v29
	v_fma_f32 v29, 0xbf1a4643, v27, -v29
	v_fmamk_f32 v53, v27, 0xbe8c1d8e, v36
	s_delay_alu instid0(VALU_DEP_4) | instskip(NEXT) | instid1(VALU_DEP_4)
	v_add_f32_e32 v5, v31, v5
	v_add_f32_e32 v41, v41, v43
	s_delay_alu instid0(VALU_DEP_4) | instskip(SKIP_3) | instid1(VALU_DEP_3)
	v_add_f32_e32 v29, v29, v33
	v_fma_f32 v33, 0xbe8c1d8e, v27, -v36
	v_add_f32_e32 v43, v53, v51
	v_mul_f32_e32 v51, 0xbf06c442, v28
	v_add_f32_e32 v33, v33, v45
	s_delay_alu instid0(VALU_DEP_2) | instskip(NEXT) | instid1(VALU_DEP_1)
	v_fmamk_f32 v45, v27, 0xbf59a7d5, v51
	v_add_f32_e32 v45, v45, v46
	v_mul_f32_e32 v31, 0xbeb8f4ab, v28
	s_delay_alu instid0(VALU_DEP_1) | instskip(SKIP_1) | instid1(VALU_DEP_2)
	v_fmamk_f32 v36, v27, 0x3f6eb680, v31
	v_fma_f32 v31, 0x3f6eb680, v27, -v31
	v_dual_add_f32 v36, v36, v37 :: v_dual_mul_f32 v37, 0x3f7ee86f, v28
	s_delay_alu instid0(VALU_DEP_1) | instskip(SKIP_1) | instid1(VALU_DEP_1)
	v_fmamk_f32 v53, v27, 0x3dbcf732, v37
	v_fma_f32 v37, 0x3dbcf732, v27, -v37
	v_dual_add_f32 v37, v37, v50 :: v_dual_mul_f32 v50, 0xbe3c28d5, v28
	v_add_f32_e32 v31, v31, v35
	v_fma_f32 v35, 0xbf59a7d5, v27, -v51
	v_mul_f32_e32 v51, 0xbf2c7751, v28
	v_mul_f32_e32 v28, 0x3f65296c, v28
	v_fmamk_f32 v26, v27, 0xbf7ba420, v50
	s_delay_alu instid0(VALU_DEP_4) | instskip(NEXT) | instid1(VALU_DEP_4)
	v_add_f32_e32 v35, v35, v48
	v_fmamk_f32 v46, v27, 0x3f3d2fb0, v51
	s_delay_alu instid0(VALU_DEP_3) | instskip(SKIP_1) | instid1(VALU_DEP_3)
	v_add_f32_e32 v26, v26, v34
	v_mul_f32_e32 v34, 0x3f65296c, v24
	v_add_f32_e32 v46, v46, v52
	v_add_f32_e32 v49, v49, v56
	s_delay_alu instid0(VALU_DEP_1) | instskip(SKIP_1) | instid1(VALU_DEP_1)
	v_add_f32_e32 v48, v53, v49
	v_fma_f32 v49, 0x3f3d2fb0, v27, -v51
	v_add_f32_e32 v42, v49, v42
	v_fma_f32 v49, 0xbf7ba420, v27, -v50
	v_fmamk_f32 v50, v27, 0x3ee437d1, v28
	v_fma_f32 v27, 0x3ee437d1, v27, -v28
	s_delay_alu instid0(VALU_DEP_3) | instskip(NEXT) | instid1(VALU_DEP_3)
	v_add_f32_e32 v28, v49, v30
	v_add_f32_e32 v30, v50, v32
	v_fmamk_f32 v32, v23, 0xbf59a7d5, v25
	v_mul_f32_e32 v49, 0x3f4c4adb, v24
	v_fma_f32 v25, 0xbf59a7d5, v23, -v25
	s_delay_alu instid0(VALU_DEP_3) | instskip(SKIP_1) | instid1(VALU_DEP_3)
	v_dual_add_f32 v32, v32, v41 :: v_dual_fmamk_f32 v41, v23, 0x3ee437d1, v34
	v_fma_f32 v34, 0x3ee437d1, v23, -v34
	v_add_f32_e32 v25, v25, v29
	s_delay_alu instid0(VALU_DEP_3) | instskip(NEXT) | instid1(VALU_DEP_3)
	v_add_f32_e32 v43, v41, v43
	v_dual_add_f32 v33, v34, v33 :: v_dual_fmamk_f32 v34, v23, 0xbf1a4643, v49
	v_fma_f32 v41, 0xbf1a4643, v23, -v49
	s_delay_alu instid0(VALU_DEP_2) | instskip(NEXT) | instid1(VALU_DEP_2)
	v_dual_mul_f32 v49, 0x3f2c7751, v24 :: v_dual_add_f32 v34, v34, v45
	v_add_f32_e32 v35, v41, v35
	s_delay_alu instid0(VALU_DEP_2) | instskip(NEXT) | instid1(VALU_DEP_1)
	v_fma_f32 v22, 0x3f3d2fb0, v23, -v49
	v_add_f32_e32 v22, v22, v28
	v_mul_f32_e32 v28, 0x3eb8f4ab, v21
	v_add_f32_e32 v5, v27, v5
	v_mul_f32_e32 v27, 0xbf7ee86f, v24
	s_delay_alu instid0(VALU_DEP_1) | instskip(SKIP_1) | instid1(VALU_DEP_2)
	v_fmamk_f32 v29, v23, 0x3dbcf732, v27
	v_fma_f32 v27, 0x3dbcf732, v23, -v27
	v_add_f32_e32 v29, v29, v36
	s_delay_alu instid0(VALU_DEP_2) | instskip(SKIP_2) | instid1(VALU_DEP_3)
	v_dual_mul_f32 v36, 0xbeb8f4ab, v24 :: v_dual_add_f32 v27, v27, v31
	v_mul_f32_e32 v31, 0xbe3c28d5, v24
	v_mul_f32_e32 v24, 0xbf763a35, v24
	v_fmamk_f32 v45, v23, 0x3f6eb680, v36
	v_fma_f32 v36, 0x3f6eb680, v23, -v36
	s_delay_alu instid0(VALU_DEP_4) | instskip(SKIP_1) | instid1(VALU_DEP_3)
	v_fmamk_f32 v41, v23, 0xbf7ba420, v31
	v_fma_f32 v31, 0xbf7ba420, v23, -v31
	v_dual_add_f32 v45, v45, v48 :: v_dual_add_f32 v36, v36, v37
	s_delay_alu instid0(VALU_DEP_3) | instskip(SKIP_1) | instid1(VALU_DEP_4)
	v_add_f32_e32 v37, v41, v46
	v_fmamk_f32 v41, v23, 0x3f3d2fb0, v49
	v_dual_add_f32 v31, v31, v42 :: v_dual_fmamk_f32 v42, v1, 0x3f6eb680, v28
	s_delay_alu instid0(VALU_DEP_2) | instskip(SKIP_1) | instid1(VALU_DEP_2)
	v_dual_add_f32 v26, v41, v26 :: v_dual_fmamk_f32 v41, v23, 0xbe8c1d8e, v24
	v_fma_f32 v23, 0xbe8c1d8e, v23, -v24
	v_add_f32_e32 v24, v41, v30
	v_fmamk_f32 v30, v1, 0xbf7ba420, v20
	v_fma_f32 v20, 0xbf7ba420, v1, -v20
	s_delay_alu instid0(VALU_DEP_4) | instskip(NEXT) | instid1(VALU_DEP_3)
	v_add_f32_e32 v23, v23, v5
	v_dual_mul_f32 v5, 0xbf06c442, v21 :: v_dual_add_f32 v30, v30, v32
	s_delay_alu instid0(VALU_DEP_3) | instskip(SKIP_1) | instid1(VALU_DEP_3)
	v_add_f32_e32 v41, v20, v25
	v_fma_f32 v20, 0x3f6eb680, v1, -v28
	v_dual_fmamk_f32 v25, v1, 0xbf59a7d5, v5 :: v_dual_add_f32 v28, v42, v43
	v_mul_f32_e32 v32, 0x3f2c7751, v21
	v_fma_f32 v42, 0xbf59a7d5, v1, -v5
	s_delay_alu instid0(VALU_DEP_4) | instskip(NEXT) | instid1(VALU_DEP_4)
	v_add_f32_e32 v5, v20, v33
	v_add_f32_e32 v20, v25, v29
	v_mul_f32_e32 v25, 0xbf4c4adb, v21
	v_fmamk_f32 v29, v1, 0x3f3d2fb0, v32
	v_add_f32_e32 v27, v42, v27
	v_fma_f32 v32, 0x3f3d2fb0, v1, -v32
	v_mul_f32_e32 v33, 0x3f65296c, v21
	v_fmamk_f32 v42, v1, 0xbf1a4643, v25
	v_fma_f32 v25, 0xbf1a4643, v1, -v25
	s_delay_alu instid0(VALU_DEP_4) | instskip(NEXT) | instid1(VALU_DEP_3)
	v_dual_add_f32 v29, v29, v34 :: v_dual_add_f32 v32, v32, v35
	v_dual_fmamk_f32 v34, v1, 0x3ee437d1, v33 :: v_dual_add_f32 v35, v42, v45
	v_mul_f32_e32 v42, 0xbf763a35, v21
	v_mul_f32_e32 v21, 0x3f7ee86f, v21
	s_delay_alu instid0(VALU_DEP_3) | instskip(SKIP_1) | instid1(VALU_DEP_4)
	v_dual_add_f32 v25, v25, v36 :: v_dual_add_f32 v34, v34, v37
	v_fma_f32 v33, 0x3ee437d1, v1, -v33
	v_fmamk_f32 v36, v1, 0xbe8c1d8e, v42
	v_fma_f32 v37, 0xbe8c1d8e, v1, -v42
	v_fmamk_f32 v42, v1, 0x3dbcf732, v21
	v_fma_f32 v1, 0x3dbcf732, v1, -v21
	s_delay_alu instid0(VALU_DEP_4) | instskip(NEXT) | instid1(VALU_DEP_4)
	v_dual_add_f32 v21, v33, v31 :: v_dual_add_f32 v26, v36, v26
	v_add_f32_e32 v22, v37, v22
	s_delay_alu instid0(VALU_DEP_3)
	v_dual_add_f32 v24, v42, v24 :: v_dual_add_f32 v1, v1, v23
	ds_store_2addr_b32 v55, v47, v30 offset1:17
	ds_store_2addr_b32 v55, v28, v20 offset0:34 offset1:51
	ds_store_2addr_b32 v55, v29, v35 offset0:68 offset1:85
	;; [unrolled: 1-line block ×7, first 2 shown]
	ds_store_b32 v55, v41 offset:1088
	v_add_nc_u32_e32 v1, 0x200, v44
	v_add_nc_u32_e32 v20, 0x800, v44
	v_add_nc_u32_e32 v21, 0x400, v44
	s_waitcnt lgkmcnt(0)
	s_barrier
	buffer_gl0_inv
	ds_load_2addr_b32 v[22:23], v44 offset1:51
	ds_load_2addr_b32 v[32:33], v1 offset0:76 offset1:161
	ds_load_2addr_b32 v[26:27], v20 offset0:66 offset1:117
	;; [unrolled: 1-line block ×6, first 2 shown]
	ds_load_b32 v43, v44 offset:3128
                                        ; implicit-def: $vgpr42
	s_and_saveexec_b32 s1, s0
	s_cbranch_execz .LBB0_15
; %bb.14:
	ds_load_b32 v5, v44 offset:1020
	ds_load_b32 v41, v44 offset:2176
	;; [unrolled: 1-line block ×3, first 2 shown]
.LBB0_15:
	s_or_b32 exec_lo, exec_lo, s1
	s_and_saveexec_b32 s1, vcc_lo
	s_cbranch_execz .LBB0_18
; %bb.16:
	v_add_nc_u32_e32 v1, 0xcc, v0
	s_delay_alu instid0(VALU_DEP_1) | instskip(NEXT) | instid1(VALU_DEP_1)
	v_dual_mov_b32 v21, 0 :: v_dual_lshlrev_b32 v20, 1, v1
	v_dual_mov_b32 v37, v21 :: v_dual_lshlrev_b32 v36, 1, v0
	s_delay_alu instid0(VALU_DEP_2) | instskip(NEXT) | instid1(VALU_DEP_2)
	v_lshlrev_b64 v[44:45], 3, v[20:21]
	v_add_nc_u32_e32 v20, 0x132, v36
	s_delay_alu instid0(VALU_DEP_3) | instskip(NEXT) | instid1(VALU_DEP_2)
	v_lshlrev_b64 v[46:47], 3, v[36:37]
	v_lshlrev_b64 v[52:53], 3, v[20:21]
	s_delay_alu instid0(VALU_DEP_4) | instskip(SKIP_1) | instid1(VALU_DEP_4)
	v_add_co_u32 v44, vcc_lo, s4, v44
	v_add_co_ci_u32_e32 v45, vcc_lo, s5, v45, vcc_lo
	v_add_co_u32 v48, vcc_lo, s4, v46
	v_add_co_ci_u32_e32 v49, vcc_lo, s5, v47, vcc_lo
	;; [unrolled: 2-line block ×3, first 2 shown]
	s_clause 0x1
	global_load_b128 v[44:47], v[44:45], off offset:2176
	global_load_b128 v[48:51], v[48:49], off offset:2176
	v_add_nc_u32_e32 v20, 0xcc, v36
	global_load_b128 v[52:55], v[52:53], off offset:2176
	v_lshlrev_b64 v[56:57], 3, v[20:21]
	v_add_nc_u32_e32 v20, 0x66, v36
	s_delay_alu instid0(VALU_DEP_2) | instskip(NEXT) | instid1(VALU_DEP_3)
	v_add_co_u32 v56, vcc_lo, s4, v56
	v_add_co_ci_u32_e32 v57, vcc_lo, s5, v57, vcc_lo
	s_delay_alu instid0(VALU_DEP_3)
	v_lshlrev_b64 v[36:37], 3, v[20:21]
	v_mul_hi_u32 v20, 0xe2c4a689, v1
	v_mov_b32_e32 v1, v21
	global_load_b128 v[56:59], v[56:57], off offset:2176
	v_add_co_u32 v36, vcc_lo, s4, v36
	v_add_co_ci_u32_e32 v37, vcc_lo, s5, v37, vcc_lo
	v_lshrrev_b32_e32 v20, 8, v20
	v_add_co_u32 v64, vcc_lo, s8, v2
	global_load_b128 v[60:63], v[36:37], off offset:2176
	v_lshlrev_b64 v[36:37], 3, v[0:1]
	v_mul_u32_u24_e32 v20, 0x242, v20
	v_add_co_ci_u32_e32 v3, vcc_lo, s9, v3, vcc_lo
	s_delay_alu instid0(VALU_DEP_3) | instskip(NEXT) | instid1(VALU_DEP_3)
	v_add_co_u32 v36, vcc_lo, v64, v36
	v_lshlrev_b64 v[1:2], 3, v[20:21]
	s_delay_alu instid0(VALU_DEP_3) | instskip(NEXT) | instid1(VALU_DEP_2)
	v_add_co_ci_u32_e32 v37, vcc_lo, v3, v37, vcc_lo
	v_add_co_u32 v64, vcc_lo, v36, v1
	s_delay_alu instid0(VALU_DEP_2) | instskip(SKIP_2) | instid1(VALU_DEP_4)
	v_add_co_ci_u32_e32 v65, vcc_lo, v37, v2, vcc_lo
	v_add_co_u32 v1, vcc_lo, 0x1000, v36
	v_add_co_ci_u32_e32 v2, vcc_lo, 0, v37, vcc_lo
	v_add_co_u32 v66, vcc_lo, 0x1000, v64
	s_delay_alu instid0(VALU_DEP_4)
	v_add_co_ci_u32_e32 v67, vcc_lo, 0, v65, vcc_lo
	s_waitcnt vmcnt(4) lgkmcnt(1)
	v_mul_f32_e32 v3, v35, v45
	v_mul_f32_e32 v45, v19, v45
	s_waitcnt lgkmcnt(0)
	v_mul_f32_e32 v20, v43, v47
	s_waitcnt vmcnt(3)
	v_dual_mul_f32 v47, v40, v47 :: v_dual_mul_f32 v68, v33, v49
	v_fma_f32 v3, v19, v44, -v3
	v_fmac_f32_e32 v45, v35, v44
	v_fma_f32 v20, v40, v46, -v20
	s_waitcnt vmcnt(2)
	v_mul_f32_e32 v40, v18, v53
	v_mul_f32_e32 v69, v26, v51
	v_dual_mul_f32 v51, v10, v51 :: v_dual_add_f32 v44, v32, v45
	v_mul_f32_e32 v49, v17, v49
	v_fma_f32 v17, v17, v48, -v68
	v_dual_fmac_f32 v47, v43, v46 :: v_dual_fmac_f32 v40, v34, v52
	s_delay_alu instid0(VALU_DEP_4)
	v_dual_fmac_f32 v51, v26, v50 :: v_dual_sub_f32 v26, v3, v20
	v_fma_f32 v10, v10, v50, -v69
	v_dual_mul_f32 v19, v34, v53 :: v_dual_add_f32 v46, v3, v20
	s_waitcnt vmcnt(1)
	v_dual_fmac_f32 v49, v33, v48 :: v_dual_mul_f32 v34, v30, v59
	v_mul_f32_e32 v35, v31, v55
	s_delay_alu instid0(VALU_DEP_3)
	v_fma_f32 v48, v18, v52, -v19
	v_mul_f32_e32 v43, v15, v55
	v_add_f32_e32 v3, v16, v3
	v_mul_f32_e32 v50, v14, v59
	v_add_f32_e32 v33, v45, v47
	v_fma_f32 v16, -0.5, v46, v16
	v_dual_add_f32 v46, v9, v48 :: v_dual_fmac_f32 v43, v31, v54
	v_fma_f32 v15, v15, v54, -v35
	v_mul_f32_e32 v31, v29, v57
	v_mul_f32_e32 v35, v13, v57
	v_sub_f32_e32 v52, v17, v10
	v_dual_add_f32 v54, v17, v10 :: v_dual_add_f32 v57, v6, v17
	v_fmac_f32_e32 v50, v30, v58
	v_fma_f32 v17, -0.5, v33, v32
	v_sub_f32_e32 v45, v45, v47
	v_add_f32_e32 v19, v44, v47
	v_add_f32_e32 v44, v48, v15
	s_delay_alu instid0(VALU_DEP_4)
	v_fmamk_f32 v32, v26, 0x3f5db3d7, v17
	v_dual_add_f32 v18, v3, v20 :: v_dual_add_f32 v53, v49, v51
	v_add_f32_e32 v20, v40, v43
	v_fma_f32 v47, v13, v56, -v31
	v_sub_f32_e32 v3, v48, v15
	v_fma_f32 v48, v14, v58, -v34
	s_waitcnt vmcnt(0)
	v_mul_f32_e32 v34, v28, v61
	v_mul_f32_e32 v58, v12, v61
	v_fma_f32 v14, -0.5, v53, v22
	v_sub_f32_e32 v55, v49, v51
	v_add_f32_e32 v49, v22, v49
	v_fmac_f32_e32 v35, v29, v56
	v_fmamk_f32 v31, v45, 0xbf5db3d7, v16
	v_fmac_f32_e32 v16, 0x3f5db3d7, v45
	v_fma_f32 v45, v12, v60, -v34
	v_dual_fmamk_f32 v12, v52, 0x3f5db3d7, v14 :: v_dual_add_f32 v33, v25, v40
	v_sub_f32_e32 v22, v35, v50
	v_dual_mul_f32 v59, v11, v63 :: v_dual_fmac_f32 v58, v28, v60
	v_sub_f32_e32 v40, v40, v43
	v_mul_f32_e32 v56, v27, v63
	v_dual_add_f32 v30, v49, v51 :: v_dual_fmac_f32 v17, 0xbf5db3d7, v26
	v_dual_add_f32 v29, v57, v10 :: v_dual_fmac_f32 v14, 0xbf5db3d7, v52
	v_fma_f32 v10, -0.5, v20, v25
	v_add_f32_e32 v26, v33, v43
	v_dual_add_f32 v20, v47, v48 :: v_dual_add_f32 v25, v46, v15
	v_add_f32_e32 v15, v35, v50
	s_delay_alu instid0(VALU_DEP_4)
	v_fmamk_f32 v28, v3, 0x3f5db3d7, v10
	v_fma_f32 v13, -0.5, v54, v6
	v_dual_fmac_f32 v59, v27, v62 :: v_dual_fmac_f32 v10, 0xbf5db3d7, v3
	v_sub_f32_e32 v6, v47, v48
	v_fma_f32 v34, -0.5, v15, v24
	v_add_f32_e32 v43, v8, v47
	v_fma_f32 v47, v11, v62, -v56
	v_dual_add_f32 v35, v24, v35 :: v_dual_add_f32 v24, v23, v58
	v_fmamk_f32 v11, v55, 0xbf5db3d7, v13
	v_fma_f32 v33, -0.5, v20, v8
	v_add_f32_e32 v8, v58, v59
	v_fma_f32 v9, -0.5, v44, v9
	v_dual_add_f32 v15, v45, v47 :: v_dual_add_f32 v44, v35, v50
	v_sub_f32_e32 v3, v45, v47
	s_delay_alu instid0(VALU_DEP_4)
	v_fma_f32 v8, -0.5, v8, v23
	v_add_f32_e32 v35, v7, v45
	v_dual_fmamk_f32 v27, v40, 0xbf5db3d7, v9 :: v_dual_sub_f32 v20, v58, v59
	v_fma_f32 v7, -0.5, v15, v7
	v_dual_fmac_f32 v13, 0x3f5db3d7, v55 :: v_dual_fmamk_f32 v46, v6, 0x3f5db3d7, v34
	v_dual_add_f32 v43, v43, v48 :: v_dual_fmac_f32 v34, 0xbf5db3d7, v6
	v_fmamk_f32 v45, v22, 0xbf5db3d7, v33
	v_fmac_f32_e32 v33, 0x3f5db3d7, v22
	v_dual_add_f32 v23, v24, v59 :: v_dual_fmamk_f32 v48, v3, 0x3f5db3d7, v8
	v_fmac_f32_e32 v8, 0xbf5db3d7, v3
	v_dual_fmac_f32 v9, 0x3f5db3d7, v40 :: v_dual_add_f32 v22, v35, v47
	v_fmamk_f32 v47, v20, 0xbf5db3d7, v7
	v_fmac_f32_e32 v7, 0x3f5db3d7, v20
	s_clause 0xe
	global_store_b64 v[36:37], v[29:30], off
	global_store_b64 v[36:37], v[22:23], off offset:408
	global_store_b64 v[36:37], v[43:44], off offset:816
	;; [unrolled: 1-line block ×14, first 2 shown]
	s_and_b32 exec_lo, exec_lo, s0
	s_cbranch_execz .LBB0_18
; %bb.17:
	v_mov_b32_e32 v3, 0xff
	s_delay_alu instid0(VALU_DEP_1) | instskip(NEXT) | instid1(VALU_DEP_1)
	v_cndmask_b32_e64 v3, 0xffffffde, v3, s0
	v_add_lshl_u32 v20, v0, v3, 1
	s_delay_alu instid0(VALU_DEP_1) | instskip(NEXT) | instid1(VALU_DEP_1)
	v_lshlrev_b64 v[6:7], 3, v[20:21]
	v_add_co_u32 v6, vcc_lo, s4, v6
	s_delay_alu instid0(VALU_DEP_2) | instskip(SKIP_4) | instid1(VALU_DEP_2)
	v_add_co_ci_u32_e32 v7, vcc_lo, s5, v7, vcc_lo
	global_load_b128 v[6:9], v[6:7], off offset:2176
	s_waitcnt vmcnt(0)
	v_mul_f32_e32 v0, v41, v7
	v_mul_f32_e32 v7, v38, v7
	v_fma_f32 v0, v38, v6, -v0
	v_mul_f32_e32 v3, v42, v9
	s_delay_alu instid0(VALU_DEP_1) | instskip(SKIP_1) | instid1(VALU_DEP_2)
	v_fma_f32 v3, v39, v8, -v3
	v_mul_f32_e32 v9, v39, v9
	v_dual_fmac_f32 v7, v41, v6 :: v_dual_add_f32 v6, v0, v3
	s_delay_alu instid0(VALU_DEP_2) | instskip(SKIP_2) | instid1(VALU_DEP_4)
	v_fmac_f32_e32 v9, v42, v8
	v_add_f32_e32 v8, v4, v0
	v_sub_f32_e32 v0, v0, v3
	v_fmac_f32_e32 v4, -0.5, v6
	s_delay_alu instid0(VALU_DEP_3) | instskip(SKIP_3) | instid1(VALU_DEP_2)
	v_add_f32_e32 v6, v8, v3
	v_add_f32_e32 v10, v7, v9
	v_sub_f32_e32 v11, v7, v9
	v_add_f32_e32 v7, v5, v7
	v_dual_fmac_f32 v5, -0.5, v10 :: v_dual_fmamk_f32 v8, v11, 0x3f5db3d7, v4
	s_delay_alu instid0(VALU_DEP_2) | instskip(NEXT) | instid1(VALU_DEP_2)
	v_dual_add_f32 v7, v7, v9 :: v_dual_fmac_f32 v4, 0xbf5db3d7, v11
	v_fmamk_f32 v9, v0, 0xbf5db3d7, v5
	v_fmac_f32_e32 v5, 0x3f5db3d7, v0
	s_clause 0x2
	global_store_b64 v[36:37], v[6:7], off offset:2040
	global_store_b64 v[1:2], v[8:9], off offset:256
	;; [unrolled: 1-line block ×3, first 2 shown]
.LBB0_18:
	s_nop 0
	s_sendmsg sendmsg(MSG_DEALLOC_VGPRS)
	s_endpgm
	.section	.rodata,"a",@progbits
	.p2align	6, 0x0
	.amdhsa_kernel fft_rtc_fwd_len867_factors_17_17_3_wgs_51_tpt_51_halfLds_sp_ip_CI_unitstride_sbrr_dirReg
		.amdhsa_group_segment_fixed_size 0
		.amdhsa_private_segment_fixed_size 0
		.amdhsa_kernarg_size 88
		.amdhsa_user_sgpr_count 15
		.amdhsa_user_sgpr_dispatch_ptr 0
		.amdhsa_user_sgpr_queue_ptr 0
		.amdhsa_user_sgpr_kernarg_segment_ptr 1
		.amdhsa_user_sgpr_dispatch_id 0
		.amdhsa_user_sgpr_private_segment_size 0
		.amdhsa_wavefront_size32 1
		.amdhsa_uses_dynamic_stack 0
		.amdhsa_enable_private_segment 0
		.amdhsa_system_sgpr_workgroup_id_x 1
		.amdhsa_system_sgpr_workgroup_id_y 0
		.amdhsa_system_sgpr_workgroup_id_z 0
		.amdhsa_system_sgpr_workgroup_info 0
		.amdhsa_system_vgpr_workitem_id 0
		.amdhsa_next_free_vgpr 88
		.amdhsa_next_free_sgpr 21
		.amdhsa_reserve_vcc 1
		.amdhsa_float_round_mode_32 0
		.amdhsa_float_round_mode_16_64 0
		.amdhsa_float_denorm_mode_32 3
		.amdhsa_float_denorm_mode_16_64 3
		.amdhsa_dx10_clamp 1
		.amdhsa_ieee_mode 1
		.amdhsa_fp16_overflow 0
		.amdhsa_workgroup_processor_mode 1
		.amdhsa_memory_ordered 1
		.amdhsa_forward_progress 0
		.amdhsa_shared_vgpr_count 0
		.amdhsa_exception_fp_ieee_invalid_op 0
		.amdhsa_exception_fp_denorm_src 0
		.amdhsa_exception_fp_ieee_div_zero 0
		.amdhsa_exception_fp_ieee_overflow 0
		.amdhsa_exception_fp_ieee_underflow 0
		.amdhsa_exception_fp_ieee_inexact 0
		.amdhsa_exception_int_div_zero 0
	.end_amdhsa_kernel
	.text
.Lfunc_end0:
	.size	fft_rtc_fwd_len867_factors_17_17_3_wgs_51_tpt_51_halfLds_sp_ip_CI_unitstride_sbrr_dirReg, .Lfunc_end0-fft_rtc_fwd_len867_factors_17_17_3_wgs_51_tpt_51_halfLds_sp_ip_CI_unitstride_sbrr_dirReg
                                        ; -- End function
	.section	.AMDGPU.csdata,"",@progbits
; Kernel info:
; codeLenInByte = 14668
; NumSgprs: 23
; NumVgprs: 88
; ScratchSize: 0
; MemoryBound: 0
; FloatMode: 240
; IeeeMode: 1
; LDSByteSize: 0 bytes/workgroup (compile time only)
; SGPRBlocks: 2
; VGPRBlocks: 10
; NumSGPRsForWavesPerEU: 23
; NumVGPRsForWavesPerEU: 88
; Occupancy: 16
; WaveLimiterHint : 1
; COMPUTE_PGM_RSRC2:SCRATCH_EN: 0
; COMPUTE_PGM_RSRC2:USER_SGPR: 15
; COMPUTE_PGM_RSRC2:TRAP_HANDLER: 0
; COMPUTE_PGM_RSRC2:TGID_X_EN: 1
; COMPUTE_PGM_RSRC2:TGID_Y_EN: 0
; COMPUTE_PGM_RSRC2:TGID_Z_EN: 0
; COMPUTE_PGM_RSRC2:TIDIG_COMP_CNT: 0
	.text
	.p2alignl 7, 3214868480
	.fill 96, 4, 3214868480
	.type	__hip_cuid_1a89415a62d5a804,@object ; @__hip_cuid_1a89415a62d5a804
	.section	.bss,"aw",@nobits
	.globl	__hip_cuid_1a89415a62d5a804
__hip_cuid_1a89415a62d5a804:
	.byte	0                               ; 0x0
	.size	__hip_cuid_1a89415a62d5a804, 1

	.ident	"AMD clang version 19.0.0git (https://github.com/RadeonOpenCompute/llvm-project roc-6.4.0 25133 c7fe45cf4b819c5991fe208aaa96edf142730f1d)"
	.section	".note.GNU-stack","",@progbits
	.addrsig
	.addrsig_sym __hip_cuid_1a89415a62d5a804
	.amdgpu_metadata
---
amdhsa.kernels:
  - .args:
      - .actual_access:  read_only
        .address_space:  global
        .offset:         0
        .size:           8
        .value_kind:     global_buffer
      - .offset:         8
        .size:           8
        .value_kind:     by_value
      - .actual_access:  read_only
        .address_space:  global
        .offset:         16
        .size:           8
        .value_kind:     global_buffer
      - .actual_access:  read_only
        .address_space:  global
        .offset:         24
        .size:           8
        .value_kind:     global_buffer
      - .offset:         32
        .size:           8
        .value_kind:     by_value
      - .actual_access:  read_only
        .address_space:  global
        .offset:         40
        .size:           8
        .value_kind:     global_buffer
      - .actual_access:  read_only
        .address_space:  global
        .offset:         48
        .size:           8
        .value_kind:     global_buffer
      - .offset:         56
        .size:           4
        .value_kind:     by_value
      - .actual_access:  read_only
        .address_space:  global
        .offset:         64
        .size:           8
        .value_kind:     global_buffer
      - .actual_access:  read_only
        .address_space:  global
        .offset:         72
        .size:           8
        .value_kind:     global_buffer
      - .address_space:  global
        .offset:         80
        .size:           8
        .value_kind:     global_buffer
    .group_segment_fixed_size: 0
    .kernarg_segment_align: 8
    .kernarg_segment_size: 88
    .language:       OpenCL C
    .language_version:
      - 2
      - 0
    .max_flat_workgroup_size: 51
    .name:           fft_rtc_fwd_len867_factors_17_17_3_wgs_51_tpt_51_halfLds_sp_ip_CI_unitstride_sbrr_dirReg
    .private_segment_fixed_size: 0
    .sgpr_count:     23
    .sgpr_spill_count: 0
    .symbol:         fft_rtc_fwd_len867_factors_17_17_3_wgs_51_tpt_51_halfLds_sp_ip_CI_unitstride_sbrr_dirReg.kd
    .uniform_work_group_size: 1
    .uses_dynamic_stack: false
    .vgpr_count:     88
    .vgpr_spill_count: 0
    .wavefront_size: 32
    .workgroup_processor_mode: 1
amdhsa.target:   amdgcn-amd-amdhsa--gfx1100
amdhsa.version:
  - 1
  - 2
...

	.end_amdgpu_metadata
